;; amdgpu-corpus repo=ROCm/aiter kind=harvested arch=n/a opt=n/a

/root/src/amdgpu-assembly/repos/ROCm__aiter/hsa/gfx950/f8_block_scale_mi350_x128.co:	file format elf64-amdgpu

Disassembly of section .text:

0000000000002900 <f8_block_scale_mi350_x128>:
	s_and_b32 s1, s1, 0xffff                                   // 000000002900: 8601FF01 0000FFFF
	s_load_dwordx2 s[8:9], s[0:1], 0x0                         // 000000002908: C0060200 00000000
	s_load_dwordx2 s[20:21], s[0:1], 0x10                      // 000000002910: C0060500 00000010
	s_load_dwordx2 s[24:25], s[0:1], 0x20                      // 000000002918: C0060600 00000020
	s_load_dwordx2 s[28:29], s[0:1], 0x40                      // 000000002920: C0060700 00000040
	s_load_dwordx2 s[32:33], s[0:1], 0x50                      // 000000002928: C0060800 00000050
	s_mov_b32 s75, 0                                           // 000000002930: BECB0080
	s_load_dword s60, s[0:1], 0x90                             // 000000002934: C0020F00 00000090
	s_load_dword s61, s[0:1], 0xa0                             // 00000000293C: C0020F40 000000A0
	s_load_dword s62, s[0:1], 0xb0                             // 000000002944: C0020F80 000000B0
	s_load_dword s63, s[0:1], 0xc0                             // 00000000294C: C0020FC0 000000C0
	s_load_dword s64, s[0:1], 0xd0                             // 000000002954: C0021000 000000D0
	s_load_dword s65, s[0:1], 0xe0                             // 00000000295C: C0021040 000000E0
	s_load_dword s66, s[0:1], 0xf0                             // 000000002964: C0021080 000000F0
	s_load_dword s74, s[0:1], 0x140                            // 00000000296C: C0021280 00000140
	s_load_dword s75, s[0:1], 0x150                            // 000000002974: C00212C0 00000150
	v_lshrrev_b32_e32 v1, 10, v0                               // 00000000297C: 2002008A
	v_lshrrev_b32_e32 v2, 10, v1                               // 000000002980: 2004028A
	v_and_b32_e32 v2, 0x3ff, v2                                // 000000002984: 260404FF 000003FF
	v_and_b32_e32 v1, 0x3ff, v1                                // 00000000298C: 260202FF 000003FF
	v_and_b32_e32 v0, 0x3ff, v0                                // 000000002994: 260000FF 000003FF
	v_lshrrev_b32_e32 v3, 6, v0                                // 00000000299C: 20060086
	v_and_b32_e32 v0, 63, v0                                   // 0000000029A0: 260000BF
	s_mov_b32 s2, s2                                           // 0000000029A4: BE820002
	s_mov_b32 s3, s3                                           // 0000000029A8: BE830003
	s_mov_b32 s4, s4                                           // 0000000029AC: BE840004
	v_readfirstlane_b32 s7, v3                                 // 0000000029B0: 7E0E0503
	s_waitcnt lgkmcnt(0)                                       // 0000000029B4: BF8CC07F
	s_mov_b32 s46, s62                                         // 0000000029B8: BEAE003E
	s_and_b32 s9, s9, 0xffff                                   // 0000000029BC: 8609FF09 0000FFFF
	s_mul_i32 s52, s62, s64                                    // 0000000029C4: 9234403E
	s_mul_i32 s53, s62, 4                                      // 0000000029C8: 9235843E
	s_mov_b32 s22, s52                                         // 0000000029CC: BE960034
	s_mul_i32 s52, s60, s61                                    // 0000000029D0: 92343D3C
	s_mov_b32 s26, s52                                         // 0000000029D4: BE9A0034
	s_mov_b32 s30, s53                                         // 0000000029D8: BE9E0035
	s_mov_b32 s10, -16                                         // 0000000029DC: BE8A00D0
	s_lshr_b32 s52, s60, 7                                     // 0000000029E0: 8F34873C
	s_mul_i32 s53, s52, 4                                      // 0000000029E4: 92358434
	s_lshr_b32 s52, s61, 7                                     // 0000000029E8: 8F34873D
	s_mul_i32 s52, s52, s53                                    // 0000000029EC: 92343534
	s_mov_b32 s34, s52                                         // 0000000029F0: BEA20034
	s_mov_b32 s23, 0x20000                                     // 0000000029F4: BE9700FF 00020000
	s_mov_b32 s27, 0x20000                                     // 0000000029FC: BE9B00FF 00020000
	s_mov_b32 s31, 0x20000                                     // 000000002A04: BE9F00FF 00020000
	s_mov_b32 s35, 0x20000                                     // 000000002A0C: BEA300FF 00020000
	s_mov_b32 s11, 0x20000                                     // 000000002A14: BE8B00FF 00020000
	s_and_b32 s21, s21, 0xffff                                 // 000000002A1C: 8615FF15 0000FFFF
	s_and_b32 s25, s25, 0xffff                                 // 000000002A24: 8619FF19 0000FFFF
	s_and_b32 s29, s29, 0xffff                                 // 000000002A2C: 861DFF1D 0000FFFF
	s_and_b32 s33, s33, 0xffff                                 // 000000002A34: 8621FF21 0000FFFF
	s_or_b32 s21, s21, 0x40000                                 // 000000002A3C: 8715FF15 00040000
	s_or_b32 s25, s25, 0x40000                                 // 000000002A44: 8719FF19 00040000
	s_or_b32 s29, s29, 0x40000                                 // 000000002A4C: 871DFF1D 00040000
	s_or_b32 s33, s33, 0x40000                                 // 000000002A54: 8721FF21 00040000
	v_accvgpr_write_b32 a159, 0                                // 000000002A5C: D3D9409F 18000080
	v_mov_b32_e32 v191, 0                                      // 000000002A64: 7F7E0280
	s_waitcnt lgkmcnt(0)                                       // 000000002A68: BF8CC07F
	s_mul_i32 s52, s3, 0x80                                    // 000000002A6C: 9234FF03 00000080
	s_cmp_lt_i32 s52, s46                                      // 000000002A74: BF042E34
	s_cbranch_scc0 label_2072                                  // 000000002A78: BF842010
	s_mov_b32 s70, 0                                           // 000000002A7C: BEC60080
	s_lshr_b32 s71, s60, s74                                   // 000000002A80: 8F474A3C
	s_mul_i32 s52, s3, 0x80                                    // 000000002A84: 9234FF03 00000080
	v_and_b32_e32 v4, 15, v0                                   // 000000002A8C: 2608008F
	v_add_u32_e64 v24, v4, s52                                 // 000000002A90: D1340018 00006904
	v_add_u32_e32 v4, 16, v4                                   // 000000002A98: 68080890
	v_add_u32_e64 v25, v4, s52                                 // 000000002A9C: D1340019 00006904
	v_add_u32_e32 v4, 16, v4                                   // 000000002AA4: 68080890
	v_add_u32_e64 v26, v4, s52                                 // 000000002AA8: D134001A 00006904
	v_add_u32_e32 v4, 16, v4                                   // 000000002AB0: 68080890
	v_add_u32_e64 v27, v4, s52                                 // 000000002AB4: D134001B 00006904
	v_add_u32_e32 v4, 16, v4                                   // 000000002ABC: 68080890
	v_add_u32_e64 v28, v4, s52                                 // 000000002AC0: D134001C 00006904
	v_add_u32_e32 v4, 16, v4                                   // 000000002AC8: 68080890
	v_add_u32_e64 v29, v4, s52                                 // 000000002ACC: D134001D 00006904
	v_add_u32_e32 v4, 16, v4                                   // 000000002AD4: 68080890
	v_add_u32_e64 v30, v4, s52                                 // 000000002AD8: D134001E 00006904
	v_add_u32_e32 v4, 16, v4                                   // 000000002AE0: 68080890
	v_add_u32_e64 v31, v4, s52                                 // 000000002AE4: D134001F 00006904
	v_add_u32_e32 v4, 16, v4                                   // 000000002AEC: 68080890
	v_lshlrev_b32_e32 v4, 2, v0                                // 000000002AF0: 24080082
	v_add_u32_e32 v4, s7, v4                                   // 000000002AF4: 68080807
	v_add_u32_e32 v4, s52, v4                                  // 000000002AF8: 68080834
	v_mov_b32_e32 v3, v4                                       // 000000002AFC: 7E060304
	s_lshr_b32 s53, s7, 1                                      // 000000002B00: 8F358107
	s_mul_i32 s53, s53, 8                                      // 000000002B04: 92358835
	s_add_u32 s52, s53, s52                                    // 000000002B08: 80343435
	s_and_b32 s53, s7, 1                                       // 000000002B0C: 86358107
	s_mul_i32 s53, s53, 2                                      // 000000002B10: 92358235
	s_add_u32 s52, s53, s52                                    // 000000002B14: 80343435
	v_lshrrev_b32_e32 v4, 3, v0                                // 000000002B18: 20080083
	v_mul_u32_u24_e32 v7, 32, v4                               // 000000002B1C: 100E08A0
	v_and_b32_e32 v4, 7, v0                                    // 000000002B20: 26080087
	v_lshrrev_b32_e32 v4, 2, v4                                // 000000002B24: 20080882
	v_mul_u32_u24_e32 v4, 16, v4                               // 000000002B28: 10080890
	v_add_u32_e32 v7, v7, v4                                   // 000000002B2C: 680E0907
	v_and_b32_e32 v4, 3, v0                                    // 000000002B30: 26080083
	v_lshrrev_b32_e32 v4, 1, v4                                // 000000002B34: 20080881
	v_mul_u32_u24_e32 v4, 4, v4                                // 000000002B38: 10080884
	v_add_u32_e32 v7, v7, v4                                   // 000000002B3C: 680E0907
	v_and_b32_e32 v4, 1, v0                                    // 000000002B40: 26080081
	v_add_u32_e32 v7, v7, v4                                   // 000000002B44: 680E0907
	v_add_u32_e32 v7, s52, v7                                  // 000000002B48: 680E0E34
	v_mov_b32_e32 v62, v7                                      // 000000002B4C: 7E7C0307
	v_mov_b32_e32 v64, 0                                       // 000000002B50: 7E800280
	v_mov_b32_e32 v128, 0                                      // 000000002B54: 7F000280
	v_mov_b32_e32 v65, 0                                       // 000000002B58: 7E820280
	v_mov_b32_e32 v129, 0                                      // 000000002B5C: 7F020280
	v_mov_b32_e32 v66, 0                                       // 000000002B60: 7E840280
	v_mov_b32_e32 v130, 0                                      // 000000002B64: 7F040280
	v_mov_b32_e32 v67, 0                                       // 000000002B68: 7E860280
	v_mov_b32_e32 v131, 0                                      // 000000002B6C: 7F060280
	v_mov_b32_e32 v68, 0                                       // 000000002B70: 7E880280
	v_mov_b32_e32 v132, 0                                      // 000000002B74: 7F080280
	v_mov_b32_e32 v69, 0                                       // 000000002B78: 7E8A0280
	v_mov_b32_e32 v133, 0                                      // 000000002B7C: 7F0A0280
	v_mov_b32_e32 v70, 0                                       // 000000002B80: 7E8C0280
	v_mov_b32_e32 v134, 0                                      // 000000002B84: 7F0C0280
	v_mov_b32_e32 v71, 0                                       // 000000002B88: 7E8E0280
	v_mov_b32_e32 v135, 0                                      // 000000002B8C: 7F0E0280
	v_mov_b32_e32 v72, 0                                       // 000000002B90: 7E900280
	v_mov_b32_e32 v136, 0                                      // 000000002B94: 7F100280
	v_mov_b32_e32 v73, 0                                       // 000000002B98: 7E920280
	v_mov_b32_e32 v137, 0                                      // 000000002B9C: 7F120280
	v_mov_b32_e32 v74, 0                                       // 000000002BA0: 7E940280
	v_mov_b32_e32 v138, 0                                      // 000000002BA4: 7F140280
	v_mov_b32_e32 v75, 0                                       // 000000002BA8: 7E960280
	v_mov_b32_e32 v139, 0                                      // 000000002BAC: 7F160280
	v_mov_b32_e32 v76, 0                                       // 000000002BB0: 7E980280
	v_mov_b32_e32 v140, 0                                      // 000000002BB4: 7F180280
	v_mov_b32_e32 v77, 0                                       // 000000002BB8: 7E9A0280
	v_mov_b32_e32 v141, 0                                      // 000000002BBC: 7F1A0280
	v_mov_b32_e32 v78, 0                                       // 000000002BC0: 7E9C0280
	v_mov_b32_e32 v142, 0                                      // 000000002BC4: 7F1C0280
	v_mov_b32_e32 v79, 0                                       // 000000002BC8: 7E9E0280
	v_mov_b32_e32 v143, 0                                      // 000000002BCC: 7F1E0280
	v_mov_b32_e32 v80, 0                                       // 000000002BD0: 7EA00280
	v_mov_b32_e32 v144, 0                                      // 000000002BD4: 7F200280
	v_mov_b32_e32 v81, 0                                       // 000000002BD8: 7EA20280
	v_mov_b32_e32 v145, 0                                      // 000000002BDC: 7F220280
	v_mov_b32_e32 v82, 0                                       // 000000002BE0: 7EA40280
	v_mov_b32_e32 v146, 0                                      // 000000002BE4: 7F240280
	v_mov_b32_e32 v83, 0                                       // 000000002BE8: 7EA60280
	v_mov_b32_e32 v147, 0                                      // 000000002BEC: 7F260280
	v_mov_b32_e32 v84, 0                                       // 000000002BF0: 7EA80280
	v_mov_b32_e32 v148, 0                                      // 000000002BF4: 7F280280
	v_mov_b32_e32 v85, 0                                       // 000000002BF8: 7EAA0280
	v_mov_b32_e32 v149, 0                                      // 000000002BFC: 7F2A0280
	v_mov_b32_e32 v86, 0                                       // 000000002C00: 7EAC0280
	v_mov_b32_e32 v150, 0                                      // 000000002C04: 7F2C0280
	v_mov_b32_e32 v87, 0                                       // 000000002C08: 7EAE0280
	v_mov_b32_e32 v151, 0                                      // 000000002C0C: 7F2E0280
	v_mov_b32_e32 v88, 0                                       // 000000002C10: 7EB00280
	v_mov_b32_e32 v152, 0                                      // 000000002C14: 7F300280
	v_mov_b32_e32 v89, 0                                       // 000000002C18: 7EB20280
	v_mov_b32_e32 v153, 0                                      // 000000002C1C: 7F320280
	v_mov_b32_e32 v90, 0                                       // 000000002C20: 7EB40280
	v_mov_b32_e32 v154, 0                                      // 000000002C24: 7F340280
	v_mov_b32_e32 v91, 0                                       // 000000002C28: 7EB60280
	v_mov_b32_e32 v155, 0                                      // 000000002C2C: 7F360280
	v_mov_b32_e32 v92, 0                                       // 000000002C30: 7EB80280
	v_mov_b32_e32 v156, 0                                      // 000000002C34: 7F380280
	v_mov_b32_e32 v93, 0                                       // 000000002C38: 7EBA0280
	v_mov_b32_e32 v157, 0                                      // 000000002C3C: 7F3A0280
	v_mov_b32_e32 v94, 0                                       // 000000002C40: 7EBC0280
	v_mov_b32_e32 v158, 0                                      // 000000002C44: 7F3C0280
	v_mov_b32_e32 v95, 0                                       // 000000002C48: 7EBE0280
	v_mov_b32_e32 v159, 0                                      // 000000002C4C: 7F3E0280
	v_mov_b32_e32 v96, 0                                       // 000000002C50: 7EC00280
	v_mov_b32_e32 v160, 0                                      // 000000002C54: 7F400280
	v_mov_b32_e32 v97, 0                                       // 000000002C58: 7EC20280
	v_mov_b32_e32 v161, 0                                      // 000000002C5C: 7F420280
	v_mov_b32_e32 v98, 0                                       // 000000002C60: 7EC40280
	v_mov_b32_e32 v162, 0                                      // 000000002C64: 7F440280
	v_mov_b32_e32 v99, 0                                       // 000000002C68: 7EC60280
	v_mov_b32_e32 v163, 0                                      // 000000002C6C: 7F460280
	v_mov_b32_e32 v100, 0                                      // 000000002C70: 7EC80280
	v_mov_b32_e32 v164, 0                                      // 000000002C74: 7F480280
	v_mov_b32_e32 v101, 0                                      // 000000002C78: 7ECA0280
	v_mov_b32_e32 v165, 0                                      // 000000002C7C: 7F4A0280
	v_mov_b32_e32 v102, 0                                      // 000000002C80: 7ECC0280
	v_mov_b32_e32 v166, 0                                      // 000000002C84: 7F4C0280
	v_mov_b32_e32 v103, 0                                      // 000000002C88: 7ECE0280
	v_mov_b32_e32 v167, 0                                      // 000000002C8C: 7F4E0280
	v_mov_b32_e32 v104, 0                                      // 000000002C90: 7ED00280
	v_mov_b32_e32 v168, 0                                      // 000000002C94: 7F500280
	v_mov_b32_e32 v105, 0                                      // 000000002C98: 7ED20280
	v_mov_b32_e32 v169, 0                                      // 000000002C9C: 7F520280
	v_mov_b32_e32 v106, 0                                      // 000000002CA0: 7ED40280
	v_mov_b32_e32 v170, 0                                      // 000000002CA4: 7F540280
	v_mov_b32_e32 v107, 0                                      // 000000002CA8: 7ED60280
	v_mov_b32_e32 v171, 0                                      // 000000002CAC: 7F560280
	v_mov_b32_e32 v108, 0                                      // 000000002CB0: 7ED80280
	v_mov_b32_e32 v172, 0                                      // 000000002CB4: 7F580280
	v_mov_b32_e32 v109, 0                                      // 000000002CB8: 7EDA0280
	v_mov_b32_e32 v173, 0                                      // 000000002CBC: 7F5A0280
	v_mov_b32_e32 v110, 0                                      // 000000002CC0: 7EDC0280
	v_mov_b32_e32 v174, 0                                      // 000000002CC4: 7F5C0280
	v_mov_b32_e32 v111, 0                                      // 000000002CC8: 7EDE0280
	v_mov_b32_e32 v175, 0                                      // 000000002CCC: 7F5E0280
	v_mov_b32_e32 v112, 0                                      // 000000002CD0: 7EE00280
	v_mov_b32_e32 v176, 0                                      // 000000002CD4: 7F600280
	v_mov_b32_e32 v113, 0                                      // 000000002CD8: 7EE20280
	v_mov_b32_e32 v177, 0                                      // 000000002CDC: 7F620280
	v_mov_b32_e32 v114, 0                                      // 000000002CE0: 7EE40280
	v_mov_b32_e32 v178, 0                                      // 000000002CE4: 7F640280
	v_mov_b32_e32 v115, 0                                      // 000000002CE8: 7EE60280
	v_mov_b32_e32 v179, 0                                      // 000000002CEC: 7F660280
	v_mov_b32_e32 v116, 0                                      // 000000002CF0: 7EE80280
	v_mov_b32_e32 v180, 0                                      // 000000002CF4: 7F680280
	v_mov_b32_e32 v117, 0                                      // 000000002CF8: 7EEA0280
	v_mov_b32_e32 v181, 0                                      // 000000002CFC: 7F6A0280
	v_mov_b32_e32 v118, 0                                      // 000000002D00: 7EEC0280
	v_mov_b32_e32 v182, 0                                      // 000000002D04: 7F6C0280
	v_mov_b32_e32 v119, 0                                      // 000000002D08: 7EEE0280
	v_mov_b32_e32 v183, 0                                      // 000000002D0C: 7F6E0280
	v_mov_b32_e32 v120, 0                                      // 000000002D10: 7EF00280
	v_mov_b32_e32 v184, 0                                      // 000000002D14: 7F700280
	v_mov_b32_e32 v121, 0                                      // 000000002D18: 7EF20280
	v_mov_b32_e32 v185, 0                                      // 000000002D1C: 7F720280
	v_mov_b32_e32 v122, 0                                      // 000000002D20: 7EF40280
	v_mov_b32_e32 v186, 0                                      // 000000002D24: 7F740280
	v_mov_b32_e32 v123, 0                                      // 000000002D28: 7EF60280
	v_mov_b32_e32 v187, 0                                      // 000000002D2C: 7F760280
	v_mov_b32_e32 v124, 0                                      // 000000002D30: 7EF80280
	v_mov_b32_e32 v188, 0                                      // 000000002D34: 7F780280
	v_mov_b32_e32 v125, 0                                      // 000000002D38: 7EFA0280
	v_mov_b32_e32 v189, 0                                      // 000000002D3C: 7F7A0280
	v_mov_b32_e32 v126, 0                                      // 000000002D40: 7EFC0280
	v_mov_b32_e32 v190, 0                                      // 000000002D44: 7F7C0280
	v_mov_b32_e32 v127, 0                                      // 000000002D48: 7EFE0280
	v_mov_b32_e32 v191, 0                                      // 000000002D4C: 7F7E0280
	s_mul_i32 s52, s2, 0x200                                   // 000000002D50: 9234FF02 00000200
	s_cmp_eq_u32 s74, 0                                        // 000000002D58: BF06804A
	s_cselect_b32 s53, 1, 2                                    // 000000002D5C: 85358281
	s_mul_i32 s52, s52, s53                                    // 000000002D60: 92343534
	s_mov_b32 s80, s8                                          // 000000002D64: BED00008
	s_mov_b32 s81, s9                                          // 000000002D68: BED10009
	s_add_u32 s8, s52, s8                                      // 000000002D6C: 80080834
	s_addc_u32 s9, 0, s9                                       // 000000002D70: 82090980
	v_lshrrev_b32_e32 v4, 4, v0                                // 000000002D74: 20080084
	v_mul_lo_u32 v16, 34, v4                                   // 000000002D78: D2850010 000208A2
	v_and_b32_e32 v4, 15, v0                                   // 000000002D80: 2608008F
	v_mul_lo_u32 v5, 2, v4                                     // 000000002D84: D2850005 00020882
	v_add_u32_e32 v16, v5, v16                                 // 000000002D8C: 68202105
	s_mul_i32 s52, s7, 0x88                                    // 000000002D90: 9234FF07 00000088
	v_add_u32_e32 v16, s52, v16                                // 000000002D98: 68202034
	v_lshlrev_b32_e32 v16, 2, v16                              // 000000002D9C: 24202082
	v_and_b32_e32 v4, 31, v0                                   // 000000002DA0: 2608009F
	v_lshrrev_b32_e32 v4, 1, v4                                // 000000002DA4: 20080881
	v_mul_lo_u32 v17, 34, v4                                   // 000000002DA8: D2850011 000208A2
	v_lshrrev_b32_e32 v4, 5, v0                                // 000000002DB0: 20080085
	v_mul_lo_u32 v4, 8, v4                                     // 000000002DB4: D2850004 00020888
	v_add_u32_e32 v17, v17, v4                                 // 000000002DBC: 68220911
	v_and_b32_e32 v5, 1, v0                                    // 000000002DC0: 260A0081
	v_add_u32_e32 v17, v5, v17                                 // 000000002DC4: 68222305
	s_mul_i32 s52, s7, 2                                       // 000000002DC8: 92348207
	v_add_u32_e32 v17, s52, v17                                // 000000002DCC: 68222234
	v_lshlrev_b32_e32 v17, 2, v17                              // 000000002DD0: 24222282
	s_mul_i32 s52, s7, 0x1020                                  // 000000002DD4: 9234FF07 00001020
	s_add_u32 s46, 0, s52                                      // 000000002DDC: 802E3480
	s_add_u32 s47, 0x4080, s46                                 // 000000002DE0: 802F2EFF 00004080
	v_and_b32_e32 v4, 15, v0                                   // 000000002DE8: 2608008F
	v_lshrrev_b32_e32 v5, 3, v4                                // 000000002DEC: 200A0883
	v_mul_i32_i24_e32 v5, 2, v5                                // 000000002DF0: 0C0A0A82
	v_and_b32_e32 v4, 3, v0                                    // 000000002DF4: 26080083
	v_lshrrev_b32_e32 v6, 1, v4                                // 000000002DF8: 200C0881
	v_add_u32_e32 v4, v5, v6                                   // 000000002DFC: 68080D05
	v_mul_i32_i24_e32 v2, 0x1020, v4                           // 000000002E00: 0C0408FF 00001020
	v_and_b32_e32 v4, 7, v0                                    // 000000002E08: 26080087
	v_lshrrev_b32_e32 v5, 2, v4                                // 000000002E0C: 200A0882
	v_mul_i32_i24_e32 v5, 0x100, v5                            // 000000002E10: 0C0A0AFF 00000100
	v_and_b32_e32 v4, 1, v0                                    // 000000002E18: 26080081
	v_mul_i32_i24_e32 v6, 0x80, v4                             // 000000002E1C: 0C0C08FF 00000080
	v_add_u32_e32 v2, v5, v2                                   // 000000002E24: 68040505
	v_add_u32_e32 v2, v6, v2                                   // 000000002E28: 68040506
	v_lshrrev_b32_e32 v4, 4, v0                                // 000000002E2C: 20080084
	v_mul_i32_i24_e32 v4, 16, v4                               // 000000002E30: 0C080890
	v_add_u32_e32 v2, v4, v2                                   // 000000002E34: 68040504
	s_waitcnt lgkmcnt(0)                                       // 000000002E38: BF8CC07F
	s_mul_i32 s52, s2, 0x100                                   // 000000002E3C: 9234FF02 00000100
	s_mul_i32 s52, s52, s65                                    // 000000002E44: 92344134
	s_add_u32 s24, s52, s24                                    // 000000002E48: 80181834
	s_addc_u32 s25, 0, s25                                     // 000000002E4C: 82191980
	s_lshr_b32 s52, s60, s74                                   // 000000002E50: 8F344A3C
	s_mul_i32 s52, s4, s52                                     // 000000002E54: 92343404
	s_lshr_b32 s52, s52, 7                                     // 000000002E58: 8F348734
	s_mul_i32 s52, s52, 0x800                                  // 000000002E5C: 9234FF34 00000800
	s_add_u32 s24, s52, s24                                    // 000000002E64: 80181834
	s_addc_u32 s25, 0, s25                                     // 000000002E68: 82191980
	s_lshr_b32 s52, s65, s74                                   // 000000002E6C: 8F344A41
	s_mul_i32 s52, s4, s52                                     // 000000002E70: 92343404
	s_add_u32 s20, s52, s20                                    // 000000002E74: 80141434
	s_addc_u32 s21, 0, s21                                     // 000000002E78: 82151580
	s_mul_i32 s52, s7, 16                                      // 000000002E7C: 92349007
	s_mul_i32 s52, s52, s65                                    // 000000002E80: 92344134
	v_lshlrev_b32_e32 v60, 4, v0                               // 000000002E84: 24780084
	v_add_u32_e32 v60, s52, v60                                // 000000002E88: 68787834
	s_mul_i32 s52, 64, s65                                     // 000000002E8C: 923441C0
	v_add_u32_e32 v61, s52, v60                                // 000000002E90: 687A7834
	s_mov_b32 s76, s24                                         // 000000002E94: BECC0018
	s_mov_b32 s77, s25                                         // 000000002E98: BECD0019
	s_mov_b32 s78, s26                                         // 000000002E9C: BECE001A
	s_mov_b32 s79, s27                                         // 000000002EA0: BECF001B
	s_lshl_b32 s52, s65, 7                                     // 000000002EA4: 8E348741
	s_add_u32 s76, s52, s76                                    // 000000002EA8: 804C4C34
	s_addc_u32 s77, 0, s77                                     // 000000002EAC: 824D4D80
	s_lshr_b32 s52, s60, 7                                     // 000000002EB0: 8F34873C
	s_mul_i32 s53, s52, 4                                      // 000000002EB4: 92358434
	v_and_b32_e32 v18, 0, v0                                   // 000000002EB8: 26240080
	v_mul_lo_u32 v18, v18, s53                                 // 000000002EBC: D2850012 00006B12
	s_lshr_b32 s52, s60, 7                                     // 000000002EC4: 8F34873C
	s_mul_i32 s52, s52, 4                                      // 000000002EC8: 92348434
	v_add_u32_e64 v19, v18, s52                                // 000000002ECC: D1340013 00006912
	s_mul_i32 s52, s2, 2                                       // 000000002ED4: 92348202
	s_mul_i32 s52, s52, s53                                    // 000000002ED8: 92343534
	s_add_u32 s32, s52, s32                                    // 000000002EDC: 80202034
	s_addc_u32 s33, 0, s33                                     // 000000002EE0: 82212180
	s_lshr_b32 s52, s60, 7                                     // 000000002EE4: 8F34873C
	s_lshr_b32 s52, s52, s74                                   // 000000002EE8: 8F344A34
	s_mul_i32 s52, s4, s52                                     // 000000002EEC: 92343404
	s_mul_i32 s53, s52, 4                                      // 000000002EF0: 92358434
	s_add_u32 s32, s53, s32                                    // 000000002EF4: 80202035
	s_addc_u32 s33, 0, s33                                     // 000000002EF8: 82212180
	s_lshl_b32 s54, s62, 2                                     // 000000002EFC: 8E36823E
	s_mul_i32 s54, s52, s54                                    // 000000002F00: 92363634
	s_add_u32 s28, s54, s28                                    // 000000002F04: 801C1C36
	s_addc_u32 s29, 0, s29                                     // 000000002F08: 821D1D80
	s_mov_b32 s4, 4                                            // 000000002F0C: BE840084
	s_mov_b32 s57, 0x80                                        // 000000002F10: BEB900FF 00000080
	s_mov_b32 s58, 0x800                                       // 000000002F18: BEBA00FF 00000800
	s_lshl_b32 s73, s65, 7                                     // 000000002F20: 8E498741
	s_mov_b32 m0, s46                                          // 000000002F24: BEFC002E
	s_waitcnt vmcnt(0) expcnt(0) lgkmcnt(0)                    // 000000002F28: BF8C0000
	s_mov_b32 s54, -1                                          // 000000002F2C: BEB600C1
	s_mov_b32 s55, -1                                          // 000000002F30: BEB700C1
	s_mov_b32 s16, 0                                           // 000000002F34: BE900080
	s_mov_b32 s17, 0                                           // 000000002F38: BE910080
	v_readlane_b32 s72, v62, 0                                 // 000000002F3C: D2890048 0001013E
	s_mul_i32 s52, s72, s64                                    // 000000002F44: 92344048
	s_lshl_b32 s16, 0xff, 0                                    // 000000002F48: 8E1080FF 000000FF
	s_mov_b32 s17, 0                                           // 000000002F50: BE910080
	s_mov_b64 exec, s[16:17]                                   // 000000002F54: BEFE0110
	v_mov_b32_e32 v56, s52                                     // 000000002F58: 7E700234
	s_mov_b64 exec, s[54:55]                                   // 000000002F5C: BEFE0136
	v_readlane_b32 s72, v62, 1                                 // 000000002F60: D2890048 0001033E
	s_mul_i32 s52, s72, s64                                    // 000000002F68: 92344048
	s_lshl_b32 s16, 0xff, 8                                    // 000000002F6C: 8E1088FF 000000FF
	s_mov_b64 exec, s[16:17]                                   // 000000002F74: BEFE0110
	v_mov_b32_e32 v56, s52                                     // 000000002F78: 7E700234
	s_mov_b64 exec, s[54:55]                                   // 000000002F7C: BEFE0136
	v_readlane_b32 s72, v62, 2                                 // 000000002F80: D2890048 0001053E
	s_mul_i32 s52, s72, s64                                    // 000000002F88: 92344048
	s_lshl_b32 s16, 0xff, 16                                   // 000000002F8C: 8E1090FF 000000FF
	s_mov_b64 exec, s[16:17]                                   // 000000002F94: BEFE0110
	v_mov_b32_e32 v56, s52                                     // 000000002F98: 7E700234
	s_mov_b64 exec, s[54:55]                                   // 000000002F9C: BEFE0136
	v_readlane_b32 s72, v62, 3                                 // 000000002FA0: D2890048 0001073E
	s_mul_i32 s52, s72, s64                                    // 000000002FA8: 92344048
	s_lshl_b32 s16, 0xff, 24                                   // 000000002FAC: 8E1098FF 000000FF
	s_mov_b64 exec, s[16:17]                                   // 000000002FB4: BEFE0110
	v_mov_b32_e32 v56, s52                                     // 000000002FB8: 7E700234
	s_mov_b64 exec, s[54:55]                                   // 000000002FBC: BEFE0136
	v_readlane_b32 s72, v62, 4                                 // 000000002FC0: D2890048 0001093E
	s_mul_i32 s52, s72, s64                                    // 000000002FC8: 92344048
	s_lshl_b32 s17, 0xff, 0                                    // 000000002FCC: 8E1180FF 000000FF
	s_mov_b32 s16, 0                                           // 000000002FD4: BE900080
	s_mov_b64 exec, s[16:17]                                   // 000000002FD8: BEFE0110
	v_mov_b32_e32 v56, s52                                     // 000000002FDC: 7E700234
	s_mov_b64 exec, s[54:55]                                   // 000000002FE0: BEFE0136
	v_readlane_b32 s72, v62, 5                                 // 000000002FE4: D2890048 00010B3E
	s_mul_i32 s52, s72, s64                                    // 000000002FEC: 92344048
	s_lshl_b32 s17, 0xff, 8                                    // 000000002FF0: 8E1188FF 000000FF
	s_mov_b64 exec, s[16:17]                                   // 000000002FF8: BEFE0110
	v_mov_b32_e32 v56, s52                                     // 000000002FFC: 7E700234
	s_mov_b64 exec, s[54:55]                                   // 000000003000: BEFE0136
	v_readlane_b32 s72, v62, 6                                 // 000000003004: D2890048 00010D3E
	s_mul_i32 s52, s72, s64                                    // 00000000300C: 92344048
	s_lshl_b32 s17, 0xff, 16                                   // 000000003010: 8E1190FF 000000FF
	s_mov_b64 exec, s[16:17]                                   // 000000003018: BEFE0110
	v_mov_b32_e32 v56, s52                                     // 00000000301C: 7E700234
	s_mov_b64 exec, s[54:55]                                   // 000000003020: BEFE0136
	v_readlane_b32 s72, v62, 7                                 // 000000003024: D2890048 00010F3E
	s_mul_i32 s52, s72, s64                                    // 00000000302C: 92344048
	s_lshl_b32 s17, 0xff, 24                                   // 000000003030: 8E1198FF 000000FF
	s_mov_b64 exec, s[16:17]                                   // 000000003038: BEFE0110
	v_mov_b32_e32 v56, s52                                     // 00000000303C: 7E700234
	s_mov_b64 exec, s[54:55]                                   // 000000003040: BEFE0136
	v_readlane_b32 s72, v62, 8                                 // 000000003044: D2890048 0001113E
	s_mul_i32 s52, s72, s64                                    // 00000000304C: 92344048
	s_lshl_b32 s16, 0xff, 0                                    // 000000003050: 8E1080FF 000000FF
	s_mov_b32 s17, 0                                           // 000000003058: BE910080
	s_mov_b64 exec, s[16:17]                                   // 00000000305C: BEFE0110
	v_mov_b32_e32 v57, s52                                     // 000000003060: 7E720234
	s_mov_b64 exec, s[54:55]                                   // 000000003064: BEFE0136
	v_readlane_b32 s72, v62, 9                                 // 000000003068: D2890048 0001133E
	s_mul_i32 s52, s72, s64                                    // 000000003070: 92344048
	s_lshl_b32 s16, 0xff, 8                                    // 000000003074: 8E1088FF 000000FF
	s_mov_b64 exec, s[16:17]                                   // 00000000307C: BEFE0110
	v_mov_b32_e32 v57, s52                                     // 000000003080: 7E720234
	s_mov_b64 exec, s[54:55]                                   // 000000003084: BEFE0136
	v_readlane_b32 s72, v62, 10                                // 000000003088: D2890048 0001153E
	s_mul_i32 s52, s72, s64                                    // 000000003090: 92344048
	s_lshl_b32 s16, 0xff, 16                                   // 000000003094: 8E1090FF 000000FF
	s_mov_b64 exec, s[16:17]                                   // 00000000309C: BEFE0110
	v_mov_b32_e32 v57, s52                                     // 0000000030A0: 7E720234
	s_mov_b64 exec, s[54:55]                                   // 0000000030A4: BEFE0136
	v_readlane_b32 s72, v62, 11                                // 0000000030A8: D2890048 0001173E
	s_mul_i32 s52, s72, s64                                    // 0000000030B0: 92344048
	s_lshl_b32 s16, 0xff, 24                                   // 0000000030B4: 8E1098FF 000000FF
	s_mov_b64 exec, s[16:17]                                   // 0000000030BC: BEFE0110
	v_mov_b32_e32 v57, s52                                     // 0000000030C0: 7E720234
	s_mov_b64 exec, s[54:55]                                   // 0000000030C4: BEFE0136
	v_readlane_b32 s72, v62, 12                                // 0000000030C8: D2890048 0001193E
	s_mul_i32 s52, s72, s64                                    // 0000000030D0: 92344048
	s_lshl_b32 s17, 0xff, 0                                    // 0000000030D4: 8E1180FF 000000FF
	s_mov_b32 s16, 0                                           // 0000000030DC: BE900080
	s_mov_b64 exec, s[16:17]                                   // 0000000030E0: BEFE0110
	v_mov_b32_e32 v57, s52                                     // 0000000030E4: 7E720234
	s_mov_b64 exec, s[54:55]                                   // 0000000030E8: BEFE0136
	v_readlane_b32 s72, v62, 13                                // 0000000030EC: D2890048 00011B3E
	s_mul_i32 s52, s72, s64                                    // 0000000030F4: 92344048
	s_lshl_b32 s17, 0xff, 8                                    // 0000000030F8: 8E1188FF 000000FF
	s_mov_b64 exec, s[16:17]                                   // 000000003100: BEFE0110
	v_mov_b32_e32 v57, s52                                     // 000000003104: 7E720234
	s_mov_b64 exec, s[54:55]                                   // 000000003108: BEFE0136
	v_readlane_b32 s72, v62, 14                                // 00000000310C: D2890048 00011D3E
	s_mul_i32 s52, s72, s64                                    // 000000003114: 92344048
	s_lshl_b32 s17, 0xff, 16                                   // 000000003118: 8E1190FF 000000FF
	s_mov_b64 exec, s[16:17]                                   // 000000003120: BEFE0110
	v_mov_b32_e32 v57, s52                                     // 000000003124: 7E720234
	s_mov_b64 exec, s[54:55]                                   // 000000003128: BEFE0136
	v_readlane_b32 s72, v62, 15                                // 00000000312C: D2890048 00011F3E
	s_mul_i32 s52, s72, s64                                    // 000000003134: 92344048
	s_lshl_b32 s17, 0xff, 24                                   // 000000003138: 8E1198FF 000000FF
	s_mov_b64 exec, s[16:17]                                   // 000000003140: BEFE0110
	v_mov_b32_e32 v57, s52                                     // 000000003144: 7E720234
	s_mov_b64 exec, s[54:55]                                   // 000000003148: BEFE0136
	v_readlane_b32 s72, v62, 16                                // 00000000314C: D2890048 0001213E
	s_mul_i32 s52, s72, s64                                    // 000000003154: 92344048
	s_lshl_b32 s16, 0xff, 0                                    // 000000003158: 8E1080FF 000000FF
	s_mov_b32 s17, 0                                           // 000000003160: BE910080
	s_mov_b64 exec, s[16:17]                                   // 000000003164: BEFE0110
	v_mov_b32_e32 v58, s52                                     // 000000003168: 7E740234
	s_mov_b64 exec, s[54:55]                                   // 00000000316C: BEFE0136
	v_readlane_b32 s72, v62, 17                                // 000000003170: D2890048 0001233E
	s_mul_i32 s52, s72, s64                                    // 000000003178: 92344048
	s_lshl_b32 s16, 0xff, 8                                    // 00000000317C: 8E1088FF 000000FF
	s_mov_b64 exec, s[16:17]                                   // 000000003184: BEFE0110
	v_mov_b32_e32 v58, s52                                     // 000000003188: 7E740234
	s_mov_b64 exec, s[54:55]                                   // 00000000318C: BEFE0136
	v_readlane_b32 s72, v62, 18                                // 000000003190: D2890048 0001253E
	s_mul_i32 s52, s72, s64                                    // 000000003198: 92344048
	s_lshl_b32 s16, 0xff, 16                                   // 00000000319C: 8E1090FF 000000FF
	s_mov_b64 exec, s[16:17]                                   // 0000000031A4: BEFE0110
	v_mov_b32_e32 v58, s52                                     // 0000000031A8: 7E740234
	s_mov_b64 exec, s[54:55]                                   // 0000000031AC: BEFE0136
	v_readlane_b32 s72, v62, 19                                // 0000000031B0: D2890048 0001273E
	s_mul_i32 s52, s72, s64                                    // 0000000031B8: 92344048
	s_lshl_b32 s16, 0xff, 24                                   // 0000000031BC: 8E1098FF 000000FF
	s_mov_b64 exec, s[16:17]                                   // 0000000031C4: BEFE0110
	v_mov_b32_e32 v58, s52                                     // 0000000031C8: 7E740234
	s_mov_b64 exec, s[54:55]                                   // 0000000031CC: BEFE0136
	v_readlane_b32 s72, v62, 20                                // 0000000031D0: D2890048 0001293E
	s_mul_i32 s52, s72, s64                                    // 0000000031D8: 92344048
	s_lshl_b32 s17, 0xff, 0                                    // 0000000031DC: 8E1180FF 000000FF
	s_mov_b32 s16, 0                                           // 0000000031E4: BE900080
	s_mov_b64 exec, s[16:17]                                   // 0000000031E8: BEFE0110
	v_mov_b32_e32 v58, s52                                     // 0000000031EC: 7E740234
	s_mov_b64 exec, s[54:55]                                   // 0000000031F0: BEFE0136
	v_readlane_b32 s72, v62, 21                                // 0000000031F4: D2890048 00012B3E
	s_mul_i32 s52, s72, s64                                    // 0000000031FC: 92344048
	s_lshl_b32 s17, 0xff, 8                                    // 000000003200: 8E1188FF 000000FF
	s_mov_b64 exec, s[16:17]                                   // 000000003208: BEFE0110
	v_mov_b32_e32 v58, s52                                     // 00000000320C: 7E740234
	s_mov_b64 exec, s[54:55]                                   // 000000003210: BEFE0136
	v_readlane_b32 s72, v62, 22                                // 000000003214: D2890048 00012D3E
	s_mul_i32 s52, s72, s64                                    // 00000000321C: 92344048
	s_lshl_b32 s17, 0xff, 16                                   // 000000003220: 8E1190FF 000000FF
	s_mov_b64 exec, s[16:17]                                   // 000000003228: BEFE0110
	v_mov_b32_e32 v58, s52                                     // 00000000322C: 7E740234
	s_mov_b64 exec, s[54:55]                                   // 000000003230: BEFE0136
	v_readlane_b32 s72, v62, 23                                // 000000003234: D2890048 00012F3E
	s_mul_i32 s52, s72, s64                                    // 00000000323C: 92344048
	s_lshl_b32 s17, 0xff, 24                                   // 000000003240: 8E1198FF 000000FF
	s_mov_b64 exec, s[16:17]                                   // 000000003248: BEFE0110
	v_mov_b32_e32 v58, s52                                     // 00000000324C: 7E740234
	s_mov_b64 exec, s[54:55]                                   // 000000003250: BEFE0136
	v_readlane_b32 s72, v62, 24                                // 000000003254: D2890048 0001313E
	s_mul_i32 s52, s72, s64                                    // 00000000325C: 92344048
	s_lshl_b32 s16, 0xff, 0                                    // 000000003260: 8E1080FF 000000FF
	s_mov_b32 s17, 0                                           // 000000003268: BE910080
	s_mov_b64 exec, s[16:17]                                   // 00000000326C: BEFE0110
	v_mov_b32_e32 v59, s52                                     // 000000003270: 7E760234
	s_mov_b64 exec, s[54:55]                                   // 000000003274: BEFE0136
	v_readlane_b32 s72, v62, 25                                // 000000003278: D2890048 0001333E
	s_mul_i32 s52, s72, s64                                    // 000000003280: 92344048
	s_lshl_b32 s16, 0xff, 8                                    // 000000003284: 8E1088FF 000000FF
	s_mov_b64 exec, s[16:17]                                   // 00000000328C: BEFE0110
	v_mov_b32_e32 v59, s52                                     // 000000003290: 7E760234
	s_mov_b64 exec, s[54:55]                                   // 000000003294: BEFE0136
	v_readlane_b32 s72, v62, 26                                // 000000003298: D2890048 0001353E
	s_mul_i32 s52, s72, s64                                    // 0000000032A0: 92344048
	s_lshl_b32 s16, 0xff, 16                                   // 0000000032A4: 8E1090FF 000000FF
	s_mov_b64 exec, s[16:17]                                   // 0000000032AC: BEFE0110
	v_mov_b32_e32 v59, s52                                     // 0000000032B0: 7E760234
	s_mov_b64 exec, s[54:55]                                   // 0000000032B4: BEFE0136
	v_readlane_b32 s72, v62, 27                                // 0000000032B8: D2890048 0001373E
	s_mul_i32 s52, s72, s64                                    // 0000000032C0: 92344048
	s_lshl_b32 s16, 0xff, 24                                   // 0000000032C4: 8E1098FF 000000FF
	s_mov_b64 exec, s[16:17]                                   // 0000000032CC: BEFE0110
	v_mov_b32_e32 v59, s52                                     // 0000000032D0: 7E760234
	s_mov_b64 exec, s[54:55]                                   // 0000000032D4: BEFE0136
	v_readlane_b32 s72, v62, 28                                // 0000000032D8: D2890048 0001393E
	s_mul_i32 s52, s72, s64                                    // 0000000032E0: 92344048
	s_lshl_b32 s17, 0xff, 0                                    // 0000000032E4: 8E1180FF 000000FF
	s_mov_b32 s16, 0                                           // 0000000032EC: BE900080
	s_mov_b64 exec, s[16:17]                                   // 0000000032F0: BEFE0110
	v_mov_b32_e32 v59, s52                                     // 0000000032F4: 7E760234
	s_mov_b64 exec, s[54:55]                                   // 0000000032F8: BEFE0136
	v_readlane_b32 s72, v62, 29                                // 0000000032FC: D2890048 00013B3E
	s_mul_i32 s52, s72, s64                                    // 000000003304: 92344048
	s_lshl_b32 s17, 0xff, 8                                    // 000000003308: 8E1188FF 000000FF
	s_mov_b64 exec, s[16:17]                                   // 000000003310: BEFE0110
	v_mov_b32_e32 v59, s52                                     // 000000003314: 7E760234
	s_mov_b64 exec, s[54:55]                                   // 000000003318: BEFE0136
	v_readlane_b32 s72, v62, 30                                // 00000000331C: D2890048 00013D3E
	s_mul_i32 s52, s72, s64                                    // 000000003324: 92344048
	s_lshl_b32 s17, 0xff, 16                                   // 000000003328: 8E1190FF 000000FF
	s_mov_b64 exec, s[16:17]                                   // 000000003330: BEFE0110
	v_mov_b32_e32 v59, s52                                     // 000000003334: 7E760234
	s_mov_b64 exec, s[54:55]                                   // 000000003338: BEFE0136
	v_readlane_b32 s72, v62, 31                                // 00000000333C: D2890048 00013F3E
	s_mul_i32 s52, s72, s64                                    // 000000003344: 92344048
	s_lshl_b32 s17, 0xff, 24                                   // 000000003348: 8E1198FF 000000FF
	s_mov_b64 exec, s[16:17]                                   // 000000003350: BEFE0110
	v_mov_b32_e32 v59, s52                                     // 000000003354: 7E760234
	s_mov_b64 exec, s[54:55]                                   // 000000003358: BEFE0136
	v_and_b32_e64 v4, v0, 7                                    // 00000000335C: D1130004 00010F00
	v_lshlrev_b32_e32 v4, 4, v4                                // 000000003364: 24080884
	v_add_u32_e32 v56, v56, v4                                 // 000000003368: 68700938
	v_add_u32_e32 v57, v57, v4                                 // 00000000336C: 68720939
	v_add_u32_e32 v58, v58, v4                                 // 000000003370: 6874093A
	v_add_u32_e32 v59, v59, v4                                 // 000000003374: 6876093B
	v_lshlrev_b32_e32 v24, 2, v24                              // 000000003378: 24303082
	v_lshlrev_b32_e32 v25, 2, v25                              // 00000000337C: 24323282
	v_lshlrev_b32_e32 v26, 2, v26                              // 000000003380: 24343482
	v_lshlrev_b32_e32 v27, 2, v27                              // 000000003384: 24363682
	;; [unrolled: 1-line block ×3, first 2 shown]
	v_lshlrev_b32_e32 v29, 2, v29                              // 00000000338C: 243A3A82
	v_lshlrev_b32_e32 v30, 2, v30                              // 000000003390: 243C3C82
	v_lshlrev_b32_e32 v31, 2, v31                              // 000000003394: 243E3E82
	s_lshl_b32 s6, s62, 2                                      // 000000003398: 8E06823E
	buffer_load_dwordx4 v56, s[20:23], 0 offen lds             // 00000000339C: E05D1000 80050038
	s_add_u32 m0, 0x400, s46                                   // 0000000033A4: 807C2EFF 00000400
	buffer_load_dwordx4 v57, s[20:23], 0 offen lds             // 0000000033AC: E05D1000 80050039
	s_add_u32 m0, 0x800, s46                                   // 0000000033B4: 807C2EFF 00000800
	buffer_load_dwordx4 v58, s[20:23], 0 offen lds             // 0000000033BC: E05D1000 8005003A
	s_add_u32 m0, 0xc00, s46                                   // 0000000033C4: 807C2EFF 00000C00
	buffer_load_dwordx4 v59, s[20:23], 0 offen lds             // 0000000033CC: E05D1000 8005003B
	s_add_u32 m0, 0, s47                                       // 0000000033D4: 807C2F80
	s_add_u32 s20, s57, s20                                    // 0000000033D8: 80141439
	s_addc_u32 s21, 0, s21                                     // 0000000033DC: 82151580
	buffer_load_dword v32, v24, s[28:31], 0 offen              // 0000000033E0: E0501000 80072018
	buffer_load_dword v33, v25, s[28:31], 0 offen              // 0000000033E8: E0501000 80072119
	buffer_load_dword v34, v26, s[28:31], 0 offen              // 0000000033F0: E0501000 8007221A
	buffer_load_dword v35, v27, s[28:31], 0 offen              // 0000000033F8: E0501000 8007231B
	buffer_load_dword v36, v28, s[28:31], 0 offen              // 000000003400: E0501000 8007241C
	buffer_load_dword v37, v29, s[28:31], 0 offen              // 000000003408: E0501000 8007251D
	buffer_load_dword v38, v30, s[28:31], 0 offen              // 000000003410: E0501000 8007261E
	buffer_load_dword v39, v31, s[28:31], 0 offen              // 000000003418: E0501000 8007271F
	s_add_u32 s28, s6, s28                                     // 000000003420: 801C1C06
	s_addc_u32 s29, 0, s29                                     // 000000003424: 821D1D80
	buffer_load_dwordx4 v56, s[20:23], 0 offen lds             // 000000003428: E05D1000 80050038
	s_add_u32 m0, 0x400, s47                                   // 000000003430: 807C2FFF 00000400
	buffer_load_dwordx4 v57, s[20:23], 0 offen lds             // 000000003438: E05D1000 80050039
	s_add_u32 m0, 0x800, s47                                   // 000000003440: 807C2FFF 00000800
	buffer_load_dwordx4 v58, s[20:23], 0 offen lds             // 000000003448: E05D1000 8005003A
	s_add_u32 m0, 0xc00, s47                                   // 000000003450: 807C2FFF 00000C00
	buffer_load_dwordx4 v59, s[20:23], 0 offen lds             // 000000003458: E05D1000 8005003B
	s_add_u32 m0, 0, s46                                       // 000000003460: 807C2E80
	s_add_u32 s20, s57, s20                                    // 000000003464: 80141439
	s_addc_u32 s21, 0, s21                                     // 000000003468: 82151580
	buffer_load_dword v40, v24, s[28:31], 0 offen              // 00000000346C: E0501000 80072818
	buffer_load_dword v41, v25, s[28:31], 0 offen              // 000000003474: E0501000 80072919
	buffer_load_dword v42, v26, s[28:31], 0 offen              // 00000000347C: E0501000 80072A1A
	buffer_load_dword v43, v27, s[28:31], 0 offen              // 000000003484: E0501000 80072B1B
	buffer_load_dword v44, v28, s[28:31], 0 offen              // 00000000348C: E0501000 80072C1C
	buffer_load_dword v45, v29, s[28:31], 0 offen              // 000000003494: E0501000 80072D1D
	buffer_load_dword v46, v30, s[28:31], 0 offen              // 00000000349C: E0501000 80072E1E
	buffer_load_dword v47, v31, s[28:31], 0 offen              // 0000000034A4: E0501000 80072F1F
	s_add_u32 s28, s6, s28                                     // 0000000034AC: 801C1C06
	s_addc_u32 s29, 0, s29                                     // 0000000034B0: 821D1D80
	buffer_load_dword v20, v18, s[32:35], 0 offen              // 0000000034B4: E0501000 80081412
	buffer_load_dwordx4 a[128:131], v60, s[24:27], 0 offen     // 0000000034BC: E05C1000 8086803C
	buffer_load_dwordx4 a[132:135], v60, s[24:27], 0 offen offset:1024// 0000000034C4: E05C1400 8086843C
	buffer_load_dwordx4 a[136:139], v61, s[24:27], 0 offen     // 0000000034CC: E05C1000 8086883D
	buffer_load_dwordx4 a[140:143], v61, s[24:27], 0 offen offset:1024// 0000000034D4: E05C1400 80868C3D
	s_add_u32 s24, s58, s24                                    // 0000000034DC: 8018183A
	s_addc_u32 s25, 0, s25                                     // 0000000034E0: 82191980
	s_waitcnt vmcnt(25)                                        // 0000000034E4: BF8C4F79
	s_barrier                                                  // 0000000034E8: BF8A0000
	ds_read_b128 a[0:3], v2                                    // 0000000034EC: DBFE0000 00000002
	ds_read_b128 a[4:7], v2 offset:64                          // 0000000034F4: DBFE0040 04000002
	ds_read_b128 a[8:11], v2 offset:512                        // 0000000034FC: DBFE0200 08000002
	ds_read_b128 a[12:15], v2 offset:576                       // 000000003504: DBFE0240 0C000002
	ds_read_b128 a[16:19], v2 offset:1024                      // 00000000350C: DBFE0400 10000002
	ds_read_b128 a[20:23], v2 offset:1088                      // 000000003514: DBFE0440 14000002
	ds_read_b128 a[24:27], v2 offset:1536                      // 00000000351C: DBFE0600 18000002
	ds_read_b128 a[28:31], v2 offset:1600                      // 000000003524: DBFE0640 1C000002
	ds_read_b128 a[32:35], v2 offset:2048                      // 00000000352C: DBFE0800 20000002
	ds_read_b128 a[36:39], v2 offset:2112                      // 000000003534: DBFE0840 24000002
	ds_read_b128 a[40:43], v2 offset:2560                      // 00000000353C: DBFE0A00 28000002
	ds_read_b128 a[44:47], v2 offset:2624                      // 000000003544: DBFE0A40 2C000002
	ds_read_b128 a[48:51], v2 offset:3072                      // 00000000354C: DBFE0C00 30000002
	ds_read_b128 a[52:55], v2 offset:3136                      // 000000003554: DBFE0C40 34000002
	ds_read_b128 a[56:59], v2 offset:3584                      // 00000000355C: DBFE0E00 38000002
	ds_read_b128 a[60:63], v2 offset:3648                      // 000000003564: DBFE0E40 3C000002
	s_cmp_lt_i32 s7, 2                                         // 00000000356C: BF048207
	s_cbranch_scc0 label_11C9                                  // 000000003570: BF840EA9

0000000000003574 <label_031D>:
	s_waitcnt vmcnt(2) lgkmcnt(0)                              // 000000003574: BF8C0072
	s_barrier                                                  // 000000003578: BF8A0000
	v_mov_b32_e32 v48, v32                                     // 00000000357C: 7E600320
	v_mov_b32_e32 v49, v33                                     // 000000003580: 7E620321
	v_mov_b32_e32 v50, v34                                     // 000000003584: 7E640322
	v_mov_b32_e32 v51, v35                                     // 000000003588: 7E660323
	v_mov_b32_e32 v52, v36                                     // 00000000358C: 7E680324
	v_mov_b32_e32 v53, v37                                     // 000000003590: 7E6A0325
	v_mov_b32_e32 v54, v38                                     // 000000003594: 7E6C0326
	v_mov_b32_e32 v55, v39                                     // 000000003598: 7E6E0327
	v_mul_f32_dpp v4, v20, v48 row_newbcast:0 row_mask:0xf bank_mask:0xf// 00000000359C: 0A0860FA FF015014
	v_mfma_f32_16x16x128_f8f6f4 v[8:11], a[128:135], a[0:7], 0 // 0000000035A4: D3AD0008 1A020180
	buffer_load_dword v23, v19, s[32:35], 0 offen              // 0000000035AC: E0501000 80081713
	v_mul_f32_dpp v6, v20, v49 row_newbcast:0 row_mask:0xf bank_mask:0xf// 0000000035B4: 0A0C62FA FF015014
	v_mfma_f32_16x16x128_f8f6f4 v[12:15], a[128:135], a[8:15], 0// 0000000035BC: D3AD000C 1A021180
	buffer_load_dwordx4 a[144:147], v60, s[76:79], 0 offen     // 0000000035C4: E05C1000 8093903C
	s_nop 5                                                    // 0000000035CC: BF800005
	v_fma_f32 v64, v8, v4, v64                                 // 0000000035D0: D1CB0040 05020908
	v_fma_f32 v65, v9, v4, v65                                 // 0000000035D8: D1CB0041 05060909
	v_fma_f32 v66, v10, v4, v66                                // 0000000035E0: D1CB0042 050A090A
	v_fma_f32 v67, v11, v4, v67                                // 0000000035E8: D1CB0043 050E090B
	v_mul_f32_dpp v4, v20, v50 row_newbcast:0 row_mask:0xf bank_mask:0xf// 0000000035F0: 0A0864FA FF015014
	v_mfma_f32_16x16x128_f8f6f4 v[8:11], a[128:135], a[16:23], 0// 0000000035F8: D3AD0008 1A022180
	s_nop 5                                                    // 000000003600: BF800005
	v_fma_f32 v68, v12, v6, v68                                // 000000003604: D1CB0044 05120D0C
	v_fma_f32 v69, v13, v6, v69                                // 00000000360C: D1CB0045 05160D0D
	v_fma_f32 v70, v14, v6, v70                                // 000000003614: D1CB0046 051A0D0E
	v_fma_f32 v71, v15, v6, v71                                // 00000000361C: D1CB0047 051E0D0F
	v_mul_f32_dpp v6, v20, v51 row_newbcast:0 row_mask:0xf bank_mask:0xf// 000000003624: 0A0C66FA FF015014
	v_mfma_f32_16x16x128_f8f6f4 v[12:15], a[128:135], a[24:31], 0// 00000000362C: D3AD000C 1A023180
	buffer_load_dwordx4 a[148:151], v60, s[76:79], 0 offen offset:1024// 000000003634: E05C1400 8093943C
	s_nop 5                                                    // 00000000363C: BF800005
	v_fma_f32 v72, v8, v4, v72                                 // 000000003640: D1CB0048 05220908
	v_fma_f32 v73, v9, v4, v73                                 // 000000003648: D1CB0049 05260909
	v_fma_f32 v74, v10, v4, v74                                // 000000003650: D1CB004A 052A090A
	v_fma_f32 v75, v11, v4, v75                                // 000000003658: D1CB004B 052E090B
	v_mul_f32_dpp v4, v20, v52 row_newbcast:0 row_mask:0xf bank_mask:0xf// 000000003660: 0A0868FA FF015014
	v_mfma_f32_16x16x128_f8f6f4 v[8:11], a[128:135], a[32:39], 0// 000000003668: D3AD0008 1A024180
	s_nop 5                                                    // 000000003670: BF800005
	v_fma_f32 v76, v12, v6, v76                                // 000000003674: D1CB004C 05320D0C
	v_fma_f32 v77, v13, v6, v77                                // 00000000367C: D1CB004D 05360D0D
	v_fma_f32 v78, v14, v6, v78                                // 000000003684: D1CB004E 053A0D0E
	v_fma_f32 v79, v15, v6, v79                                // 00000000368C: D1CB004F 053E0D0F
	v_mul_f32_dpp v6, v20, v53 row_newbcast:0 row_mask:0xf bank_mask:0xf// 000000003694: 0A0C6AFA FF015014
	v_mfma_f32_16x16x128_f8f6f4 v[12:15], a[128:135], a[40:47], 0// 00000000369C: D3AD000C 1A025180
	buffer_load_dwordx4 a[152:155], v61, s[76:79], 0 offen     // 0000000036A4: E05C1000 8093983D
	s_nop 5                                                    // 0000000036AC: BF800005
	v_fma_f32 v80, v8, v4, v80                                 // 0000000036B0: D1CB0050 05420908
	v_fma_f32 v81, v9, v4, v81                                 // 0000000036B8: D1CB0051 05460909
	v_fma_f32 v82, v10, v4, v82                                // 0000000036C0: D1CB0052 054A090A
	v_fma_f32 v83, v11, v4, v83                                // 0000000036C8: D1CB0053 054E090B
	v_mul_f32_dpp v4, v20, v54 row_newbcast:0 row_mask:0xf bank_mask:0xf// 0000000036D0: 0A086CFA FF015014
	v_mfma_f32_16x16x128_f8f6f4 v[8:11], a[128:135], a[48:55], 0// 0000000036D8: D3AD0008 1A026180
	s_nop 5                                                    // 0000000036E0: BF800005
	v_fma_f32 v84, v12, v6, v84                                // 0000000036E4: D1CB0054 05520D0C
	v_fma_f32 v85, v13, v6, v85                                // 0000000036EC: D1CB0055 05560D0D
	v_fma_f32 v86, v14, v6, v86                                // 0000000036F4: D1CB0056 055A0D0E
	v_fma_f32 v87, v15, v6, v87                                // 0000000036FC: D1CB0057 055E0D0F
	v_mul_f32_dpp v6, v20, v55 row_newbcast:0 row_mask:0xf bank_mask:0xf// 000000003704: 0A0C6EFA FF015014
	v_mfma_f32_16x16x128_f8f6f4 v[12:15], a[128:135], a[56:63], 0// 00000000370C: D3AD000C 1A027180
	buffer_load_dwordx4 a[156:159], v61, s[76:79], 0 offen offset:1024// 000000003714: E05C1400 80939C3D
	s_nop 5                                                    // 00000000371C: BF800005
	v_fma_f32 v88, v8, v4, v88                                 // 000000003720: D1CB0058 05620908
	v_fma_f32 v89, v9, v4, v89                                 // 000000003728: D1CB0059 05660909
	v_fma_f32 v90, v10, v4, v90                                // 000000003730: D1CB005A 056A090A
	v_fma_f32 v91, v11, v4, v91                                // 000000003738: D1CB005B 056E090B
	s_waitcnt vmcnt(5)                                         // 000000003740: BF8C0F75
	v_mul_f32_dpp v4, v20, v48 row_newbcast:0 row_mask:0xf bank_mask:0xf// 000000003744: 0A0860FA FF015014
	v_mfma_f32_16x16x128_f8f6f4 v[8:11], a[136:143], a[0:7], 0 // 00000000374C: D3AD0008 1A020188
	s_nop 5                                                    // 000000003754: BF800005
	v_fma_f32 v92, v12, v6, v92                                // 000000003758: D1CB005C 05720D0C
	v_fma_f32 v93, v13, v6, v93                                // 000000003760: D1CB005D 05760D0D
	v_fma_f32 v94, v14, v6, v94                                // 000000003768: D1CB005E 057A0D0E
	v_fma_f32 v95, v15, v6, v95                                // 000000003770: D1CB005F 057E0D0F
	v_mul_f32_dpp v6, v20, v49 row_newbcast:0 row_mask:0xf bank_mask:0xf// 000000003778: 0A0C62FA FF015014
	v_mfma_f32_16x16x128_f8f6f4 v[12:15], a[136:143], a[8:15], 0// 000000003780: D3AD000C 1A021188
	buffer_load_dwordx4 v56, s[20:23], 0 offen lds             // 000000003788: E05D1000 80050038
	s_add_u32 m0, 0x400, s46                                   // 000000003790: 807C2EFF 00000400
	s_nop 5                                                    // 000000003798: BF800005
	v_fma_f32 v96, v8, v4, v96                                 // 00000000379C: D1CB0060 05820908
	v_fma_f32 v97, v9, v4, v97                                 // 0000000037A4: D1CB0061 05860909
	v_fma_f32 v98, v10, v4, v98                                // 0000000037AC: D1CB0062 058A090A
	v_fma_f32 v99, v11, v4, v99                                // 0000000037B4: D1CB0063 058E090B
	v_mul_f32_dpp v4, v20, v50 row_newbcast:0 row_mask:0xf bank_mask:0xf// 0000000037BC: 0A0864FA FF015014
	v_mfma_f32_16x16x128_f8f6f4 v[8:11], a[136:143], a[16:23], 0// 0000000037C4: D3AD0008 1A022188
	s_nop 5                                                    // 0000000037CC: BF800005
	v_fma_f32 v100, v12, v6, v100                              // 0000000037D0: D1CB0064 05920D0C
	v_fma_f32 v101, v13, v6, v101                              // 0000000037D8: D1CB0065 05960D0D
	v_fma_f32 v102, v14, v6, v102                              // 0000000037E0: D1CB0066 059A0D0E
	v_fma_f32 v103, v15, v6, v103                              // 0000000037E8: D1CB0067 059E0D0F
	v_mul_f32_dpp v6, v20, v51 row_newbcast:0 row_mask:0xf bank_mask:0xf// 0000000037F0: 0A0C66FA FF015014
	v_mfma_f32_16x16x128_f8f6f4 v[12:15], a[136:143], a[24:31], 0// 0000000037F8: D3AD000C 1A023188
	buffer_load_dwordx4 v57, s[20:23], 0 offen lds             // 000000003800: E05D1000 80050039
	s_add_u32 m0, 0x800, s46                                   // 000000003808: 807C2EFF 00000800
	s_nop 5                                                    // 000000003810: BF800005
	v_fma_f32 v104, v8, v4, v104                               // 000000003814: D1CB0068 05A20908
	v_fma_f32 v105, v9, v4, v105                               // 00000000381C: D1CB0069 05A60909
	v_fma_f32 v106, v10, v4, v106                              // 000000003824: D1CB006A 05AA090A
	v_fma_f32 v107, v11, v4, v107                              // 00000000382C: D1CB006B 05AE090B
	v_mul_f32_dpp v4, v20, v52 row_newbcast:0 row_mask:0xf bank_mask:0xf// 000000003834: 0A0868FA FF015014
	v_mfma_f32_16x16x128_f8f6f4 v[8:11], a[136:143], a[32:39], 0// 00000000383C: D3AD0008 1A024188
	s_nop 5                                                    // 000000003844: BF800005
	v_fma_f32 v108, v12, v6, v108                              // 000000003848: D1CB006C 05B20D0C
	v_fma_f32 v109, v13, v6, v109                              // 000000003850: D1CB006D 05B60D0D
	v_fma_f32 v110, v14, v6, v110                              // 000000003858: D1CB006E 05BA0D0E
	v_fma_f32 v111, v15, v6, v111                              // 000000003860: D1CB006F 05BE0D0F
	v_mul_f32_dpp v6, v20, v53 row_newbcast:0 row_mask:0xf bank_mask:0xf// 000000003868: 0A0C6AFA FF015014
	v_mfma_f32_16x16x128_f8f6f4 v[12:15], a[136:143], a[40:47], 0// 000000003870: D3AD000C 1A025188
	buffer_load_dwordx4 v58, s[20:23], 0 offen lds             // 000000003878: E05D1000 8005003A
	s_add_u32 m0, 0xc00, s46                                   // 000000003880: 807C2EFF 00000C00
	s_nop 5                                                    // 000000003888: BF800005
	v_fma_f32 v112, v8, v4, v112                               // 00000000388C: D1CB0070 05C20908
	v_fma_f32 v113, v9, v4, v113                               // 000000003894: D1CB0071 05C60909
	v_fma_f32 v114, v10, v4, v114                              // 00000000389C: D1CB0072 05CA090A
	v_fma_f32 v115, v11, v4, v115                              // 0000000038A4: D1CB0073 05CE090B
	v_mul_f32_dpp v4, v20, v54 row_newbcast:0 row_mask:0xf bank_mask:0xf// 0000000038AC: 0A086CFA FF015014
	v_mfma_f32_16x16x128_f8f6f4 v[8:11], a[136:143], a[48:55], 0// 0000000038B4: D3AD0008 1A026188
	s_add_u32 s52, 0x80, s70                                   // 0000000038BC: 803446FF 00000080
	s_cmp_lt_u32 s52, s71                                      // 0000000038C4: BF0A4734
	s_cselect_b32 s73, s73, 0                                  // 0000000038C8: 85498049
	s_cselect_b32 s4, s4, 0                                    // 0000000038CC: 85048004
	s_nop 5                                                    // 0000000038D0: BF800005
	v_fma_f32 v116, v12, v6, v116                              // 0000000038D4: D1CB0074 05D20D0C
	v_fma_f32 v117, v13, v6, v117                              // 0000000038DC: D1CB0075 05D60D0D
	v_fma_f32 v118, v14, v6, v118                              // 0000000038E4: D1CB0076 05DA0D0E
	v_fma_f32 v119, v15, v6, v119                              // 0000000038EC: D1CB0077 05DE0D0F
	v_mul_f32_dpp v6, v20, v55 row_newbcast:0 row_mask:0xf bank_mask:0xf// 0000000038F4: 0A0C6EFA FF015014
	v_mfma_f32_16x16x128_f8f6f4 v[12:15], a[136:143], a[56:63], 0// 0000000038FC: D3AD000C 1A027188
	buffer_load_dwordx4 v59, s[20:23], 0 offen lds             // 000000003904: E05D1000 8005003B
	s_add_u32 m0, 0, s47                                       // 00000000390C: 807C2F80
	s_add_u32 s32, s4, s32                                     // 000000003910: 80202004
	s_addc_u32 s33, 0, s33                                     // 000000003914: 82212180
	s_nop 5                                                    // 000000003918: BF800005
	v_fma_f32 v120, v8, v4, v120                               // 00000000391C: D1CB0078 05E20908
	v_fma_f32 v121, v9, v4, v121                               // 000000003924: D1CB0079 05E60909
	v_fma_f32 v122, v10, v4, v122                              // 00000000392C: D1CB007A 05EA090A
	v_fma_f32 v123, v11, v4, v123                              // 000000003934: D1CB007B 05EE090B
	s_nop 5                                                    // 00000000393C: BF800005
	v_fma_f32 v124, v12, v6, v124                              // 000000003940: D1CB007C 05F20D0C
	v_fma_f32 v125, v13, v6, v125                              // 000000003948: D1CB007D 05F60D0D
	v_fma_f32 v126, v14, v6, v126                              // 000000003950: D1CB007E 05FA0D0E
	v_fma_f32 v127, v15, v6, v127                              // 000000003958: D1CB007F 05FE0D0F
	buffer_load_dword v32, v24, s[28:31], 0 offen              // 000000003960: E0501000 80072018
	buffer_load_dword v33, v25, s[28:31], 0 offen              // 000000003968: E0501000 80072119
	buffer_load_dword v34, v26, s[28:31], 0 offen              // 000000003970: E0501000 8007221A
	buffer_load_dword v35, v27, s[28:31], 0 offen              // 000000003978: E0501000 8007231B
	buffer_load_dword v36, v28, s[28:31], 0 offen              // 000000003980: E0501000 8007241C
	buffer_load_dword v37, v29, s[28:31], 0 offen              // 000000003988: E0501000 8007251D
	buffer_load_dword v38, v30, s[28:31], 0 offen              // 000000003990: E0501000 8007261E
	buffer_load_dword v39, v31, s[28:31], 0 offen              // 000000003998: E0501000 8007271F
	s_waitcnt vmcnt(12)                                        // 0000000039A0: BF8C0F7C
	v_mul_f32_dpp v4, v23, v48 row_newbcast:0 row_mask:0xf bank_mask:0xf// 0000000039A4: 0A0860FA FF015017
	v_mfma_f32_16x16x128_f8f6f4 v[8:11], a[144:151], a[0:7], 0 // 0000000039AC: D3AD0008 1A020190
	buffer_load_dword v20, v18, s[32:35], 0 offen              // 0000000039B4: E0501000 80081412
	ds_read_b128 a[64:67], v2 offset:16512                     // 0000000039BC: DBFE4080 40000002
	ds_read_b128 a[68:71], v2 offset:16576                     // 0000000039C4: DBFE40C0 44000002
	v_mfma_f32_16x16x128_f8f6f4 v[12:15], a[152:159], a[0:7], 0// 0000000039CC: D3AD000C 1A020198
	buffer_load_dwordx4 a[128:131], v60, s[24:27], 0 offen     // 0000000039D4: E05C1000 8086803C
	s_nop 5                                                    // 0000000039DC: BF800005
	v_fma_f32 v128, v8, v4, v128                               // 0000000039E0: D1CB0080 06020908
	v_fma_f32 v129, v9, v4, v129                               // 0000000039E8: D1CB0081 06060909
	v_fma_f32 v130, v10, v4, v130                              // 0000000039F0: D1CB0082 060A090A
	v_fma_f32 v131, v11, v4, v131                              // 0000000039F8: D1CB0083 060E090B
	v_mul_f32_dpp v6, v23, v49 row_newbcast:0 row_mask:0xf bank_mask:0xf// 000000003A00: 0A0C62FA FF015017
	v_mfma_f32_16x16x128_f8f6f4 v[8:11], a[144:151], a[8:15], 0// 000000003A08: D3AD0008 1A021190
	ds_read_b128 a[72:75], v2 offset:17024                     // 000000003A10: DBFE4280 48000002
	ds_read_b128 a[76:79], v2 offset:17088                     // 000000003A18: DBFE42C0 4C000002
	s_nop 5                                                    // 000000003A20: BF800005
	v_fma_f32 v160, v12, v4, v160                              // 000000003A24: D1CB00A0 0682090C
	v_fma_f32 v161, v13, v4, v161                              // 000000003A2C: D1CB00A1 0686090D
	v_fma_f32 v162, v14, v4, v162                              // 000000003A34: D1CB00A2 068A090E
	v_fma_f32 v163, v15, v4, v163                              // 000000003A3C: D1CB00A3 068E090F
	v_mfma_f32_16x16x128_f8f6f4 v[12:15], a[152:159], a[8:15], 0// 000000003A44: D3AD000C 1A021198
	buffer_load_dwordx4 a[132:135], v60, s[24:27], 0 offen offset:1024// 000000003A4C: E05C1400 8086843C
	s_nop 5                                                    // 000000003A54: BF800005
	v_fma_f32 v132, v8, v6, v132                               // 000000003A58: D1CB0084 06120D08
	v_fma_f32 v133, v9, v6, v133                               // 000000003A60: D1CB0085 06160D09
	v_fma_f32 v134, v10, v6, v134                              // 000000003A68: D1CB0086 061A0D0A
	v_fma_f32 v135, v11, v6, v135                              // 000000003A70: D1CB0087 061E0D0B
	v_mul_f32_dpp v4, v23, v50 row_newbcast:0 row_mask:0xf bank_mask:0xf// 000000003A78: 0A0864FA FF015017
	v_mfma_f32_16x16x128_f8f6f4 v[8:11], a[144:151], a[16:23], 0// 000000003A80: D3AD0008 1A022190
	ds_read_b128 a[80:83], v2 offset:17536                     // 000000003A88: DBFE4480 50000002
	ds_read_b128 a[84:87], v2 offset:17600                     // 000000003A90: DBFE44C0 54000002
	s_nop 5                                                    // 000000003A98: BF800005
	v_fma_f32 v164, v12, v6, v164                              // 000000003A9C: D1CB00A4 06920D0C
	v_fma_f32 v165, v13, v6, v165                              // 000000003AA4: D1CB00A5 06960D0D
	v_fma_f32 v166, v14, v6, v166                              // 000000003AAC: D1CB00A6 069A0D0E
	v_fma_f32 v167, v15, v6, v167                              // 000000003AB4: D1CB00A7 069E0D0F
	v_mfma_f32_16x16x128_f8f6f4 v[12:15], a[152:159], a[16:23], 0// 000000003ABC: D3AD000C 1A022198
	buffer_load_dwordx4 a[136:139], v61, s[24:27], 0 offen     // 000000003AC4: E05C1000 8086883D
	s_nop 5                                                    // 000000003ACC: BF800005
	v_fma_f32 v136, v8, v4, v136                               // 000000003AD0: D1CB0088 06220908
	v_fma_f32 v137, v9, v4, v137                               // 000000003AD8: D1CB0089 06260909
	v_fma_f32 v138, v10, v4, v138                              // 000000003AE0: D1CB008A 062A090A
	v_fma_f32 v139, v11, v4, v139                              // 000000003AE8: D1CB008B 062E090B
	v_mul_f32_dpp v6, v23, v51 row_newbcast:0 row_mask:0xf bank_mask:0xf// 000000003AF0: 0A0C66FA FF015017
	v_mfma_f32_16x16x128_f8f6f4 v[8:11], a[144:151], a[24:31], 0// 000000003AF8: D3AD0008 1A023190
	ds_read_b128 a[88:91], v2 offset:18048                     // 000000003B00: DBFE4680 58000002
	ds_read_b128 a[92:95], v2 offset:18112                     // 000000003B08: DBFE46C0 5C000002
	s_nop 5                                                    // 000000003B10: BF800005
	v_fma_f32 v168, v12, v4, v168                              // 000000003B14: D1CB00A8 06A2090C
	v_fma_f32 v169, v13, v4, v169                              // 000000003B1C: D1CB00A9 06A6090D
	v_fma_f32 v170, v14, v4, v170                              // 000000003B24: D1CB00AA 06AA090E
	v_fma_f32 v171, v15, v4, v171                              // 000000003B2C: D1CB00AB 06AE090F
	v_mfma_f32_16x16x128_f8f6f4 v[12:15], a[152:159], a[24:31], 0// 000000003B34: D3AD000C 1A023198
	buffer_load_dwordx4 a[140:143], v61, s[24:27], 0 offen offset:1024// 000000003B3C: E05C1400 80868C3D
	s_nop 5                                                    // 000000003B44: BF800005
	v_fma_f32 v140, v8, v6, v140                               // 000000003B48: D1CB008C 06320D08
	v_fma_f32 v141, v9, v6, v141                               // 000000003B50: D1CB008D 06360D09
	v_fma_f32 v142, v10, v6, v142                              // 000000003B58: D1CB008E 063A0D0A
	v_fma_f32 v143, v11, v6, v143                              // 000000003B60: D1CB008F 063E0D0B
	v_mul_f32_dpp v4, v23, v52 row_newbcast:0 row_mask:0xf bank_mask:0xf// 000000003B68: 0A0868FA FF015017
	v_mfma_f32_16x16x128_f8f6f4 v[8:11], a[144:151], a[32:39], 0// 000000003B70: D3AD0008 1A024190
	ds_read_b128 a[96:99], v2 offset:18560                     // 000000003B78: DBFE4880 60000002
	ds_read_b128 a[100:103], v2 offset:18624                   // 000000003B80: DBFE48C0 64000002
	s_nop 5                                                    // 000000003B88: BF800005
	v_fma_f32 v172, v12, v6, v172                              // 000000003B8C: D1CB00AC 06B20D0C
	v_fma_f32 v173, v13, v6, v173                              // 000000003B94: D1CB00AD 06B60D0D
	v_fma_f32 v174, v14, v6, v174                              // 000000003B9C: D1CB00AE 06BA0D0E
	v_fma_f32 v175, v15, v6, v175                              // 000000003BA4: D1CB00AF 06BE0D0F
	v_mfma_f32_16x16x128_f8f6f4 v[12:15], a[152:159], a[32:39], 0// 000000003BAC: D3AD000C 1A024198
	s_nop 5                                                    // 000000003BB4: BF800005
	v_fma_f32 v144, v8, v4, v144                               // 000000003BB8: D1CB0090 06420908
	v_fma_f32 v145, v9, v4, v145                               // 000000003BC0: D1CB0091 06460909
	v_fma_f32 v146, v10, v4, v146                              // 000000003BC8: D1CB0092 064A090A
	v_fma_f32 v147, v11, v4, v147                              // 000000003BD0: D1CB0093 064E090B
	v_mul_f32_dpp v6, v23, v53 row_newbcast:0 row_mask:0xf bank_mask:0xf// 000000003BD8: 0A0C6AFA FF015017
	v_mfma_f32_16x16x128_f8f6f4 v[8:11], a[144:151], a[40:47], 0// 000000003BE0: D3AD0008 1A025190
	ds_read_b128 a[104:107], v2 offset:19072                   // 000000003BE8: DBFE4A80 68000002
	ds_read_b128 a[108:111], v2 offset:19136                   // 000000003BF0: DBFE4AC0 6C000002
	s_nop 5                                                    // 000000003BF8: BF800005
	v_fma_f32 v176, v12, v4, v176                              // 000000003BFC: D1CB00B0 06C2090C
	v_fma_f32 v177, v13, v4, v177                              // 000000003C04: D1CB00B1 06C6090D
	v_fma_f32 v178, v14, v4, v178                              // 000000003C0C: D1CB00B2 06CA090E
	v_fma_f32 v179, v15, v4, v179                              // 000000003C14: D1CB00B3 06CE090F
	v_mfma_f32_16x16x128_f8f6f4 v[12:15], a[152:159], a[40:47], 0// 000000003C1C: D3AD000C 1A025198
	s_add_u32 s52, 0x100, s70                                  // 000000003C24: 803446FF 00000100
	s_cmp_lt_u32 s52, s71                                      // 000000003C2C: BF0A4734
	s_cselect_b32 s58, s58, 0                                  // 000000003C30: 853A803A
	s_nop 5                                                    // 000000003C34: BF800005
	v_fma_f32 v148, v8, v6, v148                               // 000000003C38: D1CB0094 06520D08
	v_fma_f32 v149, v9, v6, v149                               // 000000003C40: D1CB0095 06560D09
	v_fma_f32 v150, v10, v6, v150                              // 000000003C48: D1CB0096 065A0D0A
	v_fma_f32 v151, v11, v6, v151                              // 000000003C50: D1CB0097 065E0D0B
	v_mul_f32_dpp v4, v23, v54 row_newbcast:0 row_mask:0xf bank_mask:0xf// 000000003C58: 0A086CFA FF015017
	v_mfma_f32_16x16x128_f8f6f4 v[8:11], a[144:151], a[48:55], 0// 000000003C60: D3AD0008 1A026190
	ds_read_b128 a[112:115], v2 offset:19584                   // 000000003C68: DBFE4C80 70000002
	ds_read_b128 a[116:119], v2 offset:19648                   // 000000003C70: DBFE4CC0 74000002
	s_add_u32 s76, s73, s24                                    // 000000003C78: 804C1849
	s_addc_u32 s77, 0, s77                                     // 000000003C7C: 824D4D80
	s_nop 5                                                    // 000000003C80: BF800005
	v_fma_f32 v180, v12, v6, v180                              // 000000003C84: D1CB00B4 06D20D0C
	v_fma_f32 v181, v13, v6, v181                              // 000000003C8C: D1CB00B5 06D60D0D
	v_fma_f32 v182, v14, v6, v182                              // 000000003C94: D1CB00B6 06DA0D0E
	v_fma_f32 v183, v15, v6, v183                              // 000000003C9C: D1CB00B7 06DE0D0F
	v_mfma_f32_16x16x128_f8f6f4 v[12:15], a[152:159], a[48:55], 0// 000000003CA4: D3AD000C 1A026198
	s_add_u32 s52, 0x180, s70                                  // 000000003CAC: 803446FF 00000180
	s_cmp_lt_u32 s52, s71                                      // 000000003CB4: BF0A4734
	s_cselect_b32 s57, s57, 0                                  // 000000003CB8: 85398039
	s_cselect_b32 s6, s6, 0                                    // 000000003CBC: 85068006
	s_nop 5                                                    // 000000003CC0: BF800005
	v_fma_f32 v152, v8, v4, v152                               // 000000003CC4: D1CB0098 06620908
	v_fma_f32 v153, v9, v4, v153                               // 000000003CCC: D1CB0099 06660909
	v_fma_f32 v154, v10, v4, v154                              // 000000003CD4: D1CB009A 066A090A
	v_fma_f32 v155, v11, v4, v155                              // 000000003CDC: D1CB009B 066E090B
	v_mul_f32_dpp v6, v23, v55 row_newbcast:0 row_mask:0xf bank_mask:0xf// 000000003CE4: 0A0C6EFA FF015017
	v_mfma_f32_16x16x128_f8f6f4 v[8:11], a[144:151], a[56:63], 0// 000000003CEC: D3AD0008 1A027190
	ds_read_b128 a[120:123], v2 offset:20096                   // 000000003CF4: DBFE4E80 78000002
	ds_read_b128 a[124:127], v2 offset:20160                   // 000000003CFC: DBFE4EC0 7C000002
	s_add_u32 s20, s57, s20                                    // 000000003D04: 80141439
	s_addc_u32 s21, 0, s21                                     // 000000003D08: 82151580
	s_add_u32 s28, s6, s28                                     // 000000003D0C: 801C1C06
	s_addc_u32 s29, 0, s29                                     // 000000003D10: 821D1D80
	s_nop 5                                                    // 000000003D14: BF800005
	v_fma_f32 v184, v12, v4, v184                              // 000000003D18: D1CB00B8 06E2090C
	v_fma_f32 v185, v13, v4, v185                              // 000000003D20: D1CB00B9 06E6090D
	v_fma_f32 v186, v14, v4, v186                              // 000000003D28: D1CB00BA 06EA090E
	v_fma_f32 v187, v15, v4, v187                              // 000000003D30: D1CB00BB 06EE090F
	v_mfma_f32_16x16x128_f8f6f4 v[12:15], a[152:159], a[56:63], 0// 000000003D38: D3AD000C 1A027198
	s_add_u32 s24, s58, s24                                    // 000000003D40: 8018183A
	s_addc_u32 s25, 0, s25                                     // 000000003D44: 82191980
	s_nop 5                                                    // 000000003D48: BF800005
	v_fma_f32 v156, v8, v6, v156                               // 000000003D4C: D1CB009C 06720D08
	v_fma_f32 v157, v9, v6, v157                               // 000000003D54: D1CB009D 06760D09
	v_fma_f32 v158, v10, v6, v158                              // 000000003D5C: D1CB009E 067A0D0A
	v_fma_f32 v159, v11, v6, v159                              // 000000003D64: D1CB009F 067E0D0B
	s_nop 5                                                    // 000000003D6C: BF800005
	v_fma_f32 v188, v12, v6, v188                              // 000000003D70: D1CB00BC 06F20D0C
	v_fma_f32 v189, v13, v6, v189                              // 000000003D78: D1CB00BD 06F60D0D
	v_fma_f32 v190, v14, v6, v190                              // 000000003D80: D1CB00BE 06FA0D0E
	v_fma_f32 v191, v15, v6, v191                              // 000000003D88: D1CB00BF 06FE0D0F
	s_addk_i32 s70, 0x80                                       // 000000003D90: B7460080
	s_cmp_lt_i32 s70, s71                                      // 000000003D94: BF044746
	s_cbranch_scc0 label_0732                                  // 000000003D98: BF84020B
	s_waitcnt vmcnt(2) lgkmcnt(0)                              // 000000003D9C: BF8C0072
	s_barrier                                                  // 000000003DA0: BF8A0000
	v_mov_b32_e32 v48, v40                                     // 000000003DA4: 7E600328
	v_mov_b32_e32 v49, v41                                     // 000000003DA8: 7E620329
	v_mov_b32_e32 v50, v42                                     // 000000003DAC: 7E64032A
	v_mov_b32_e32 v51, v43                                     // 000000003DB0: 7E66032B
	v_mov_b32_e32 v52, v44                                     // 000000003DB4: 7E68032C
	v_mov_b32_e32 v53, v45                                     // 000000003DB8: 7E6A032D
	v_mov_b32_e32 v54, v46                                     // 000000003DBC: 7E6C032E
	v_mov_b32_e32 v55, v47                                     // 000000003DC0: 7E6E032F
	v_mul_f32_dpp v4, v20, v48 row_newbcast:0 row_mask:0xf bank_mask:0xf// 000000003DC4: 0A0860FA FF015014
	v_mfma_f32_16x16x128_f8f6f4 v[8:11], a[128:135], a[64:71], 0// 000000003DCC: D3AD0008 1A028180
	buffer_load_dword v23, v19, s[32:35], 0 offen              // 000000003DD4: E0501000 80081713
	v_mul_f32_dpp v6, v20, v49 row_newbcast:0 row_mask:0xf bank_mask:0xf// 000000003DDC: 0A0C62FA FF015014
	v_mfma_f32_16x16x128_f8f6f4 v[12:15], a[128:135], a[72:79], 0// 000000003DE4: D3AD000C 1A029180
	buffer_load_dwordx4 a[144:147], v60, s[76:79], 0 offen     // 000000003DEC: E05C1000 8093903C
	s_nop 5                                                    // 000000003DF4: BF800005
	v_fma_f32 v64, v8, v4, v64                                 // 000000003DF8: D1CB0040 05020908
	v_fma_f32 v65, v9, v4, v65                                 // 000000003E00: D1CB0041 05060909
	v_fma_f32 v66, v10, v4, v66                                // 000000003E08: D1CB0042 050A090A
	v_fma_f32 v67, v11, v4, v67                                // 000000003E10: D1CB0043 050E090B
	v_mul_f32_dpp v4, v20, v50 row_newbcast:0 row_mask:0xf bank_mask:0xf// 000000003E18: 0A0864FA FF015014
	v_mfma_f32_16x16x128_f8f6f4 v[8:11], a[128:135], a[80:87], 0// 000000003E20: D3AD0008 1A02A180
	s_nop 5                                                    // 000000003E28: BF800005
	v_fma_f32 v68, v12, v6, v68                                // 000000003E2C: D1CB0044 05120D0C
	v_fma_f32 v69, v13, v6, v69                                // 000000003E34: D1CB0045 05160D0D
	v_fma_f32 v70, v14, v6, v70                                // 000000003E3C: D1CB0046 051A0D0E
	v_fma_f32 v71, v15, v6, v71                                // 000000003E44: D1CB0047 051E0D0F
	v_mul_f32_dpp v6, v20, v51 row_newbcast:0 row_mask:0xf bank_mask:0xf// 000000003E4C: 0A0C66FA FF015014
	v_mfma_f32_16x16x128_f8f6f4 v[12:15], a[128:135], a[88:95], 0// 000000003E54: D3AD000C 1A02B180
	buffer_load_dwordx4 a[148:151], v60, s[76:79], 0 offen offset:1024// 000000003E5C: E05C1400 8093943C
	s_nop 5                                                    // 000000003E64: BF800005
	v_fma_f32 v72, v8, v4, v72                                 // 000000003E68: D1CB0048 05220908
	v_fma_f32 v73, v9, v4, v73                                 // 000000003E70: D1CB0049 05260909
	v_fma_f32 v74, v10, v4, v74                                // 000000003E78: D1CB004A 052A090A
	v_fma_f32 v75, v11, v4, v75                                // 000000003E80: D1CB004B 052E090B
	v_mul_f32_dpp v4, v20, v52 row_newbcast:0 row_mask:0xf bank_mask:0xf// 000000003E88: 0A0868FA FF015014
	v_mfma_f32_16x16x128_f8f6f4 v[8:11], a[128:135], a[96:103], 0// 000000003E90: D3AD0008 1A02C180
	s_nop 5                                                    // 000000003E98: BF800005
	v_fma_f32 v76, v12, v6, v76                                // 000000003E9C: D1CB004C 05320D0C
	v_fma_f32 v77, v13, v6, v77                                // 000000003EA4: D1CB004D 05360D0D
	v_fma_f32 v78, v14, v6, v78                                // 000000003EAC: D1CB004E 053A0D0E
	v_fma_f32 v79, v15, v6, v79                                // 000000003EB4: D1CB004F 053E0D0F
	v_mul_f32_dpp v6, v20, v53 row_newbcast:0 row_mask:0xf bank_mask:0xf// 000000003EBC: 0A0C6AFA FF015014
	v_mfma_f32_16x16x128_f8f6f4 v[12:15], a[128:135], a[104:111], 0// 000000003EC4: D3AD000C 1A02D180
	buffer_load_dwordx4 a[152:155], v61, s[76:79], 0 offen     // 000000003ECC: E05C1000 8093983D
	s_nop 5                                                    // 000000003ED4: BF800005
	v_fma_f32 v80, v8, v4, v80                                 // 000000003ED8: D1CB0050 05420908
	v_fma_f32 v81, v9, v4, v81                                 // 000000003EE0: D1CB0051 05460909
	v_fma_f32 v82, v10, v4, v82                                // 000000003EE8: D1CB0052 054A090A
	v_fma_f32 v83, v11, v4, v83                                // 000000003EF0: D1CB0053 054E090B
	v_mul_f32_dpp v4, v20, v54 row_newbcast:0 row_mask:0xf bank_mask:0xf// 000000003EF8: 0A086CFA FF015014
	v_mfma_f32_16x16x128_f8f6f4 v[8:11], a[128:135], a[112:119], 0// 000000003F00: D3AD0008 1A02E180
	s_nop 5                                                    // 000000003F08: BF800005
	v_fma_f32 v84, v12, v6, v84                                // 000000003F0C: D1CB0054 05520D0C
	v_fma_f32 v85, v13, v6, v85                                // 000000003F14: D1CB0055 05560D0D
	v_fma_f32 v86, v14, v6, v86                                // 000000003F1C: D1CB0056 055A0D0E
	v_fma_f32 v87, v15, v6, v87                                // 000000003F24: D1CB0057 055E0D0F
	v_mul_f32_dpp v6, v20, v55 row_newbcast:0 row_mask:0xf bank_mask:0xf// 000000003F2C: 0A0C6EFA FF015014
	v_mfma_f32_16x16x128_f8f6f4 v[12:15], a[128:135], a[120:127], 0// 000000003F34: D3AD000C 1A02F180
	buffer_load_dwordx4 a[156:159], v61, s[76:79], 0 offen offset:1024// 000000003F3C: E05C1400 80939C3D
	s_nop 5                                                    // 000000003F44: BF800005
	v_fma_f32 v88, v8, v4, v88                                 // 000000003F48: D1CB0058 05620908
	v_fma_f32 v89, v9, v4, v89                                 // 000000003F50: D1CB0059 05660909
	v_fma_f32 v90, v10, v4, v90                                // 000000003F58: D1CB005A 056A090A
	v_fma_f32 v91, v11, v4, v91                                // 000000003F60: D1CB005B 056E090B
	s_waitcnt vmcnt(5)                                         // 000000003F68: BF8C0F75
	v_mul_f32_dpp v4, v20, v48 row_newbcast:0 row_mask:0xf bank_mask:0xf// 000000003F6C: 0A0860FA FF015014
	v_mfma_f32_16x16x128_f8f6f4 v[8:11], a[136:143], a[64:71], 0// 000000003F74: D3AD0008 1A028188
	s_nop 5                                                    // 000000003F7C: BF800005
	v_fma_f32 v92, v12, v6, v92                                // 000000003F80: D1CB005C 05720D0C
	v_fma_f32 v93, v13, v6, v93                                // 000000003F88: D1CB005D 05760D0D
	v_fma_f32 v94, v14, v6, v94                                // 000000003F90: D1CB005E 057A0D0E
	v_fma_f32 v95, v15, v6, v95                                // 000000003F98: D1CB005F 057E0D0F
	v_mul_f32_dpp v6, v20, v49 row_newbcast:0 row_mask:0xf bank_mask:0xf// 000000003FA0: 0A0C62FA FF015014
	v_mfma_f32_16x16x128_f8f6f4 v[12:15], a[136:143], a[72:79], 0// 000000003FA8: D3AD000C 1A029188
	buffer_load_dwordx4 v56, s[20:23], 0 offen lds             // 000000003FB0: E05D1000 80050038
	s_add_u32 m0, 0x400, s47                                   // 000000003FB8: 807C2FFF 00000400
	s_nop 5                                                    // 000000003FC0: BF800005
	v_fma_f32 v96, v8, v4, v96                                 // 000000003FC4: D1CB0060 05820908
	v_fma_f32 v97, v9, v4, v97                                 // 000000003FCC: D1CB0061 05860909
	v_fma_f32 v98, v10, v4, v98                                // 000000003FD4: D1CB0062 058A090A
	v_fma_f32 v99, v11, v4, v99                                // 000000003FDC: D1CB0063 058E090B
	v_mul_f32_dpp v4, v20, v50 row_newbcast:0 row_mask:0xf bank_mask:0xf// 000000003FE4: 0A0864FA FF015014
	v_mfma_f32_16x16x128_f8f6f4 v[8:11], a[136:143], a[80:87], 0// 000000003FEC: D3AD0008 1A02A188
	s_nop 5                                                    // 000000003FF4: BF800005
	v_fma_f32 v100, v12, v6, v100                              // 000000003FF8: D1CB0064 05920D0C
	v_fma_f32 v101, v13, v6, v101                              // 000000004000: D1CB0065 05960D0D
	v_fma_f32 v102, v14, v6, v102                              // 000000004008: D1CB0066 059A0D0E
	v_fma_f32 v103, v15, v6, v103                              // 000000004010: D1CB0067 059E0D0F
	v_mul_f32_dpp v6, v20, v51 row_newbcast:0 row_mask:0xf bank_mask:0xf// 000000004018: 0A0C66FA FF015014
	v_mfma_f32_16x16x128_f8f6f4 v[12:15], a[136:143], a[88:95], 0// 000000004020: D3AD000C 1A02B188
	buffer_load_dwordx4 v57, s[20:23], 0 offen lds             // 000000004028: E05D1000 80050039
	s_add_u32 m0, 0x800, s47                                   // 000000004030: 807C2FFF 00000800
	s_nop 5                                                    // 000000004038: BF800005
	v_fma_f32 v104, v8, v4, v104                               // 00000000403C: D1CB0068 05A20908
	v_fma_f32 v105, v9, v4, v105                               // 000000004044: D1CB0069 05A60909
	v_fma_f32 v106, v10, v4, v106                              // 00000000404C: D1CB006A 05AA090A
	v_fma_f32 v107, v11, v4, v107                              // 000000004054: D1CB006B 05AE090B
	v_mul_f32_dpp v4, v20, v52 row_newbcast:0 row_mask:0xf bank_mask:0xf// 00000000405C: 0A0868FA FF015014
	v_mfma_f32_16x16x128_f8f6f4 v[8:11], a[136:143], a[96:103], 0// 000000004064: D3AD0008 1A02C188
	s_nop 5                                                    // 00000000406C: BF800005
	v_fma_f32 v108, v12, v6, v108                              // 000000004070: D1CB006C 05B20D0C
	v_fma_f32 v109, v13, v6, v109                              // 000000004078: D1CB006D 05B60D0D
	v_fma_f32 v110, v14, v6, v110                              // 000000004080: D1CB006E 05BA0D0E
	v_fma_f32 v111, v15, v6, v111                              // 000000004088: D1CB006F 05BE0D0F
	v_mul_f32_dpp v6, v20, v53 row_newbcast:0 row_mask:0xf bank_mask:0xf// 000000004090: 0A0C6AFA FF015014
	v_mfma_f32_16x16x128_f8f6f4 v[12:15], a[136:143], a[104:111], 0// 000000004098: D3AD000C 1A02D188
	buffer_load_dwordx4 v58, s[20:23], 0 offen lds             // 0000000040A0: E05D1000 8005003A
	s_add_u32 m0, 0xc00, s47                                   // 0000000040A8: 807C2FFF 00000C00
	s_nop 5                                                    // 0000000040B0: BF800005
	v_fma_f32 v112, v8, v4, v112                               // 0000000040B4: D1CB0070 05C20908
	v_fma_f32 v113, v9, v4, v113                               // 0000000040BC: D1CB0071 05C60909
	v_fma_f32 v114, v10, v4, v114                              // 0000000040C4: D1CB0072 05CA090A
	v_fma_f32 v115, v11, v4, v115                              // 0000000040CC: D1CB0073 05CE090B
	v_mul_f32_dpp v4, v20, v54 row_newbcast:0 row_mask:0xf bank_mask:0xf// 0000000040D4: 0A086CFA FF015014
	v_mfma_f32_16x16x128_f8f6f4 v[8:11], a[136:143], a[112:119], 0// 0000000040DC: D3AD0008 1A02E188
	s_add_u32 s52, 0x80, s70                                   // 0000000040E4: 803446FF 00000080
	s_cmp_lt_u32 s52, s71                                      // 0000000040EC: BF0A4734
	s_cselect_b32 s73, s73, 0                                  // 0000000040F0: 85498049
	s_cselect_b32 s4, s4, 0                                    // 0000000040F4: 85048004
	s_nop 5                                                    // 0000000040F8: BF800005
	v_fma_f32 v116, v12, v6, v116                              // 0000000040FC: D1CB0074 05D20D0C
	v_fma_f32 v117, v13, v6, v117                              // 000000004104: D1CB0075 05D60D0D
	v_fma_f32 v118, v14, v6, v118                              // 00000000410C: D1CB0076 05DA0D0E
	v_fma_f32 v119, v15, v6, v119                              // 000000004114: D1CB0077 05DE0D0F
	v_mul_f32_dpp v6, v20, v55 row_newbcast:0 row_mask:0xf bank_mask:0xf// 00000000411C: 0A0C6EFA FF015014
	v_mfma_f32_16x16x128_f8f6f4 v[12:15], a[136:143], a[120:127], 0// 000000004124: D3AD000C 1A02F188
	buffer_load_dwordx4 v59, s[20:23], 0 offen lds             // 00000000412C: E05D1000 8005003B
	s_add_u32 m0, 0, s46                                       // 000000004134: 807C2E80
	s_add_u32 s32, s4, s32                                     // 000000004138: 80202004
	s_addc_u32 s33, 0, s33                                     // 00000000413C: 82212180
	s_nop 5                                                    // 000000004140: BF800005
	v_fma_f32 v120, v8, v4, v120                               // 000000004144: D1CB0078 05E20908
	v_fma_f32 v121, v9, v4, v121                               // 00000000414C: D1CB0079 05E60909
	v_fma_f32 v122, v10, v4, v122                              // 000000004154: D1CB007A 05EA090A
	v_fma_f32 v123, v11, v4, v123                              // 00000000415C: D1CB007B 05EE090B
	s_nop 5                                                    // 000000004164: BF800005
	v_fma_f32 v124, v12, v6, v124                              // 000000004168: D1CB007C 05F20D0C
	v_fma_f32 v125, v13, v6, v125                              // 000000004170: D1CB007D 05F60D0D
	v_fma_f32 v126, v14, v6, v126                              // 000000004178: D1CB007E 05FA0D0E
	v_fma_f32 v127, v15, v6, v127                              // 000000004180: D1CB007F 05FE0D0F
	buffer_load_dword v40, v24, s[28:31], 0 offen              // 000000004188: E0501000 80072818
	buffer_load_dword v41, v25, s[28:31], 0 offen              // 000000004190: E0501000 80072919
	buffer_load_dword v42, v26, s[28:31], 0 offen              // 000000004198: E0501000 80072A1A
	buffer_load_dword v43, v27, s[28:31], 0 offen              // 0000000041A0: E0501000 80072B1B
	buffer_load_dword v44, v28, s[28:31], 0 offen              // 0000000041A8: E0501000 80072C1C
	buffer_load_dword v45, v29, s[28:31], 0 offen              // 0000000041B0: E0501000 80072D1D
	buffer_load_dword v46, v30, s[28:31], 0 offen              // 0000000041B8: E0501000 80072E1E
	buffer_load_dword v47, v31, s[28:31], 0 offen              // 0000000041C0: E0501000 80072F1F
	s_waitcnt vmcnt(12)                                        // 0000000041C8: BF8C0F7C
	v_mul_f32_dpp v4, v23, v48 row_newbcast:0 row_mask:0xf bank_mask:0xf// 0000000041CC: 0A0860FA FF015017
	v_mfma_f32_16x16x128_f8f6f4 v[8:11], a[144:151], a[64:71], 0// 0000000041D4: D3AD0008 1A028190
	buffer_load_dword v20, v18, s[32:35], 0 offen              // 0000000041DC: E0501000 80081412
	ds_read_b128 a[0:3], v2                                    // 0000000041E4: DBFE0000 00000002
	ds_read_b128 a[4:7], v2 offset:64                          // 0000000041EC: DBFE0040 04000002
	v_mfma_f32_16x16x128_f8f6f4 v[12:15], a[152:159], a[64:71], 0// 0000000041F4: D3AD000C 1A028198
	buffer_load_dwordx4 a[128:131], v60, s[24:27], 0 offen     // 0000000041FC: E05C1000 8086803C
	s_nop 5                                                    // 000000004204: BF800005
	v_fma_f32 v128, v8, v4, v128                               // 000000004208: D1CB0080 06020908
	v_fma_f32 v129, v9, v4, v129                               // 000000004210: D1CB0081 06060909
	v_fma_f32 v130, v10, v4, v130                              // 000000004218: D1CB0082 060A090A
	v_fma_f32 v131, v11, v4, v131                              // 000000004220: D1CB0083 060E090B
	v_mul_f32_dpp v6, v23, v49 row_newbcast:0 row_mask:0xf bank_mask:0xf// 000000004228: 0A0C62FA FF015017
	v_mfma_f32_16x16x128_f8f6f4 v[8:11], a[144:151], a[72:79], 0// 000000004230: D3AD0008 1A029190
	ds_read_b128 a[8:11], v2 offset:512                        // 000000004238: DBFE0200 08000002
	ds_read_b128 a[12:15], v2 offset:576                       // 000000004240: DBFE0240 0C000002
	s_nop 5                                                    // 000000004248: BF800005
	v_fma_f32 v160, v12, v4, v160                              // 00000000424C: D1CB00A0 0682090C
	v_fma_f32 v161, v13, v4, v161                              // 000000004254: D1CB00A1 0686090D
	v_fma_f32 v162, v14, v4, v162                              // 00000000425C: D1CB00A2 068A090E
	v_fma_f32 v163, v15, v4, v163                              // 000000004264: D1CB00A3 068E090F
	v_mfma_f32_16x16x128_f8f6f4 v[12:15], a[152:159], a[72:79], 0// 00000000426C: D3AD000C 1A029198
	buffer_load_dwordx4 a[132:135], v60, s[24:27], 0 offen offset:1024// 000000004274: E05C1400 8086843C
	s_nop 5                                                    // 00000000427C: BF800005
	v_fma_f32 v132, v8, v6, v132                               // 000000004280: D1CB0084 06120D08
	v_fma_f32 v133, v9, v6, v133                               // 000000004288: D1CB0085 06160D09
	v_fma_f32 v134, v10, v6, v134                              // 000000004290: D1CB0086 061A0D0A
	v_fma_f32 v135, v11, v6, v135                              // 000000004298: D1CB0087 061E0D0B
	v_mul_f32_dpp v4, v23, v50 row_newbcast:0 row_mask:0xf bank_mask:0xf// 0000000042A0: 0A0864FA FF015017
	v_mfma_f32_16x16x128_f8f6f4 v[8:11], a[144:151], a[80:87], 0// 0000000042A8: D3AD0008 1A02A190
	ds_read_b128 a[16:19], v2 offset:1024                      // 0000000042B0: DBFE0400 10000002
	ds_read_b128 a[20:23], v2 offset:1088                      // 0000000042B8: DBFE0440 14000002
	s_nop 5                                                    // 0000000042C0: BF800005
	v_fma_f32 v164, v12, v6, v164                              // 0000000042C4: D1CB00A4 06920D0C
	v_fma_f32 v165, v13, v6, v165                              // 0000000042CC: D1CB00A5 06960D0D
	v_fma_f32 v166, v14, v6, v166                              // 0000000042D4: D1CB00A6 069A0D0E
	v_fma_f32 v167, v15, v6, v167                              // 0000000042DC: D1CB00A7 069E0D0F
	v_mfma_f32_16x16x128_f8f6f4 v[12:15], a[152:159], a[80:87], 0// 0000000042E4: D3AD000C 1A02A198
	buffer_load_dwordx4 a[136:139], v61, s[24:27], 0 offen     // 0000000042EC: E05C1000 8086883D
	s_nop 5                                                    // 0000000042F4: BF800005
	v_fma_f32 v136, v8, v4, v136                               // 0000000042F8: D1CB0088 06220908
	v_fma_f32 v137, v9, v4, v137                               // 000000004300: D1CB0089 06260909
	v_fma_f32 v138, v10, v4, v138                              // 000000004308: D1CB008A 062A090A
	v_fma_f32 v139, v11, v4, v139                              // 000000004310: D1CB008B 062E090B
	v_mul_f32_dpp v6, v23, v51 row_newbcast:0 row_mask:0xf bank_mask:0xf// 000000004318: 0A0C66FA FF015017
	v_mfma_f32_16x16x128_f8f6f4 v[8:11], a[144:151], a[88:95], 0// 000000004320: D3AD0008 1A02B190
	ds_read_b128 a[24:27], v2 offset:1536                      // 000000004328: DBFE0600 18000002
	ds_read_b128 a[28:31], v2 offset:1600                      // 000000004330: DBFE0640 1C000002
	s_nop 5                                                    // 000000004338: BF800005
	v_fma_f32 v168, v12, v4, v168                              // 00000000433C: D1CB00A8 06A2090C
	v_fma_f32 v169, v13, v4, v169                              // 000000004344: D1CB00A9 06A6090D
	v_fma_f32 v170, v14, v4, v170                              // 00000000434C: D1CB00AA 06AA090E
	v_fma_f32 v171, v15, v4, v171                              // 000000004354: D1CB00AB 06AE090F
	v_mfma_f32_16x16x128_f8f6f4 v[12:15], a[152:159], a[88:95], 0// 00000000435C: D3AD000C 1A02B198
	buffer_load_dwordx4 a[140:143], v61, s[24:27], 0 offen offset:1024// 000000004364: E05C1400 80868C3D
	s_nop 5                                                    // 00000000436C: BF800005
	v_fma_f32 v140, v8, v6, v140                               // 000000004370: D1CB008C 06320D08
	v_fma_f32 v141, v9, v6, v141                               // 000000004378: D1CB008D 06360D09
	v_fma_f32 v142, v10, v6, v142                              // 000000004380: D1CB008E 063A0D0A
	v_fma_f32 v143, v11, v6, v143                              // 000000004388: D1CB008F 063E0D0B
	v_mul_f32_dpp v4, v23, v52 row_newbcast:0 row_mask:0xf bank_mask:0xf// 000000004390: 0A0868FA FF015017
	v_mfma_f32_16x16x128_f8f6f4 v[8:11], a[144:151], a[96:103], 0// 000000004398: D3AD0008 1A02C190
	ds_read_b128 a[32:35], v2 offset:2048                      // 0000000043A0: DBFE0800 20000002
	ds_read_b128 a[36:39], v2 offset:2112                      // 0000000043A8: DBFE0840 24000002
	s_nop 5                                                    // 0000000043B0: BF800005
	v_fma_f32 v172, v12, v6, v172                              // 0000000043B4: D1CB00AC 06B20D0C
	v_fma_f32 v173, v13, v6, v173                              // 0000000043BC: D1CB00AD 06B60D0D
	v_fma_f32 v174, v14, v6, v174                              // 0000000043C4: D1CB00AE 06BA0D0E
	v_fma_f32 v175, v15, v6, v175                              // 0000000043CC: D1CB00AF 06BE0D0F
	v_mfma_f32_16x16x128_f8f6f4 v[12:15], a[152:159], a[96:103], 0// 0000000043D4: D3AD000C 1A02C198
	s_nop 5                                                    // 0000000043DC: BF800005
	v_fma_f32 v144, v8, v4, v144                               // 0000000043E0: D1CB0090 06420908
	v_fma_f32 v145, v9, v4, v145                               // 0000000043E8: D1CB0091 06460909
	v_fma_f32 v146, v10, v4, v146                              // 0000000043F0: D1CB0092 064A090A
	v_fma_f32 v147, v11, v4, v147                              // 0000000043F8: D1CB0093 064E090B
	v_mul_f32_dpp v6, v23, v53 row_newbcast:0 row_mask:0xf bank_mask:0xf// 000000004400: 0A0C6AFA FF015017
	v_mfma_f32_16x16x128_f8f6f4 v[8:11], a[144:151], a[104:111], 0// 000000004408: D3AD0008 1A02D190
	ds_read_b128 a[40:43], v2 offset:2560                      // 000000004410: DBFE0A00 28000002
	ds_read_b128 a[44:47], v2 offset:2624                      // 000000004418: DBFE0A40 2C000002
	s_nop 5                                                    // 000000004420: BF800005
	v_fma_f32 v176, v12, v4, v176                              // 000000004424: D1CB00B0 06C2090C
	v_fma_f32 v177, v13, v4, v177                              // 00000000442C: D1CB00B1 06C6090D
	v_fma_f32 v178, v14, v4, v178                              // 000000004434: D1CB00B2 06CA090E
	v_fma_f32 v179, v15, v4, v179                              // 00000000443C: D1CB00B3 06CE090F
	v_mfma_f32_16x16x128_f8f6f4 v[12:15], a[152:159], a[104:111], 0// 000000004444: D3AD000C 1A02D198
	s_add_u32 s52, 0x100, s70                                  // 00000000444C: 803446FF 00000100
	s_cmp_lt_u32 s52, s71                                      // 000000004454: BF0A4734
	s_cselect_b32 s58, s58, 0                                  // 000000004458: 853A803A
	s_nop 5                                                    // 00000000445C: BF800005
	v_fma_f32 v148, v8, v6, v148                               // 000000004460: D1CB0094 06520D08
	v_fma_f32 v149, v9, v6, v149                               // 000000004468: D1CB0095 06560D09
	v_fma_f32 v150, v10, v6, v150                              // 000000004470: D1CB0096 065A0D0A
	v_fma_f32 v151, v11, v6, v151                              // 000000004478: D1CB0097 065E0D0B
	v_mul_f32_dpp v4, v23, v54 row_newbcast:0 row_mask:0xf bank_mask:0xf// 000000004480: 0A086CFA FF015017
	v_mfma_f32_16x16x128_f8f6f4 v[8:11], a[144:151], a[112:119], 0// 000000004488: D3AD0008 1A02E190
	ds_read_b128 a[48:51], v2 offset:3072                      // 000000004490: DBFE0C00 30000002
	ds_read_b128 a[52:55], v2 offset:3136                      // 000000004498: DBFE0C40 34000002
	s_add_u32 s76, s73, s24                                    // 0000000044A0: 804C1849
	s_addc_u32 s77, 0, s77                                     // 0000000044A4: 824D4D80
	s_nop 5                                                    // 0000000044A8: BF800005
	v_fma_f32 v180, v12, v6, v180                              // 0000000044AC: D1CB00B4 06D20D0C
	v_fma_f32 v181, v13, v6, v181                              // 0000000044B4: D1CB00B5 06D60D0D
	v_fma_f32 v182, v14, v6, v182                              // 0000000044BC: D1CB00B6 06DA0D0E
	v_fma_f32 v183, v15, v6, v183                              // 0000000044C4: D1CB00B7 06DE0D0F
	v_mfma_f32_16x16x128_f8f6f4 v[12:15], a[152:159], a[112:119], 0// 0000000044CC: D3AD000C 1A02E198
	s_add_u32 s52, 0x180, s70                                  // 0000000044D4: 803446FF 00000180
	s_cmp_lt_u32 s52, s71                                      // 0000000044DC: BF0A4734
	s_cselect_b32 s57, s57, 0                                  // 0000000044E0: 85398039
	s_cselect_b32 s6, s6, 0                                    // 0000000044E4: 85068006
	s_nop 5                                                    // 0000000044E8: BF800005
	v_fma_f32 v152, v8, v4, v152                               // 0000000044EC: D1CB0098 06620908
	v_fma_f32 v153, v9, v4, v153                               // 0000000044F4: D1CB0099 06660909
	v_fma_f32 v154, v10, v4, v154                              // 0000000044FC: D1CB009A 066A090A
	v_fma_f32 v155, v11, v4, v155                              // 000000004504: D1CB009B 066E090B
	v_mul_f32_dpp v6, v23, v55 row_newbcast:0 row_mask:0xf bank_mask:0xf// 00000000450C: 0A0C6EFA FF015017
	v_mfma_f32_16x16x128_f8f6f4 v[8:11], a[144:151], a[120:127], 0// 000000004514: D3AD0008 1A02F190
	ds_read_b128 a[56:59], v2 offset:3584                      // 00000000451C: DBFE0E00 38000002
	ds_read_b128 a[60:63], v2 offset:3648                      // 000000004524: DBFE0E40 3C000002
	s_add_u32 s20, s57, s20                                    // 00000000452C: 80141439
	s_addc_u32 s21, 0, s21                                     // 000000004530: 82151580
	s_add_u32 s28, s6, s28                                     // 000000004534: 801C1C06
	s_addc_u32 s29, 0, s29                                     // 000000004538: 821D1D80
	s_nop 5                                                    // 00000000453C: BF800005
	v_fma_f32 v184, v12, v4, v184                              // 000000004540: D1CB00B8 06E2090C
	v_fma_f32 v185, v13, v4, v185                              // 000000004548: D1CB00B9 06E6090D
	v_fma_f32 v186, v14, v4, v186                              // 000000004550: D1CB00BA 06EA090E
	v_fma_f32 v187, v15, v4, v187                              // 000000004558: D1CB00BB 06EE090F
	v_mfma_f32_16x16x128_f8f6f4 v[12:15], a[152:159], a[120:127], 0// 000000004560: D3AD000C 1A02F198
	s_add_u32 s24, s58, s24                                    // 000000004568: 8018183A
	s_addc_u32 s25, 0, s25                                     // 00000000456C: 82191980
	s_nop 5                                                    // 000000004570: BF800005
	v_fma_f32 v156, v8, v6, v156                               // 000000004574: D1CB009C 06720D08
	v_fma_f32 v157, v9, v6, v157                               // 00000000457C: D1CB009D 06760D09
	v_fma_f32 v158, v10, v6, v158                              // 000000004584: D1CB009E 067A0D0A
	v_fma_f32 v159, v11, v6, v159                              // 00000000458C: D1CB009F 067E0D0B
	s_nop 5                                                    // 000000004594: BF800005
	v_fma_f32 v188, v12, v6, v188                              // 000000004598: D1CB00BC 06F20D0C
	v_fma_f32 v189, v13, v6, v189                              // 0000000045A0: D1CB00BD 06F60D0D
	v_fma_f32 v190, v14, v6, v190                              // 0000000045A8: D1CB00BE 06FA0D0E
	v_fma_f32 v191, v15, v6, v191                              // 0000000045B0: D1CB00BF 06FE0D0F
	s_addk_i32 s70, 0x80                                       // 0000000045B8: B7460080
	s_cmp_lt_i32 s70, s71                                      // 0000000045BC: BF044746
	s_cbranch_scc0 label_0732                                  // 0000000045C0: BF840001
	s_branch label_031D                                        // 0000000045C4: BF82FBEB

00000000000045c8 <label_0732>:
	s_cmp_eq_u32 s74, 0                                        // 0000000045C8: BF06804A
	s_cbranch_scc0 label_0B5C                                  // 0000000045CC: BF840428
	v_cvt_pk_bf16_f32 v64, v64, v65                            // 0000000045D0: D2680040 00028340
	v_cvt_pk_bf16_f32 v65, v66, v67                            // 0000000045D8: D2680041 00028742
	v_cvt_pk_bf16_f32 v66, v68, v69                            // 0000000045E0: D2680042 00028B44
	v_cvt_pk_bf16_f32 v67, v70, v71                            // 0000000045E8: D2680043 00028F46
	v_cvt_pk_bf16_f32 v68, v72, v73                            // 0000000045F0: D2680044 00029348
	v_cvt_pk_bf16_f32 v69, v74, v75                            // 0000000045F8: D2680045 0002974A
	v_cvt_pk_bf16_f32 v70, v76, v77                            // 000000004600: D2680046 00029B4C
	v_cvt_pk_bf16_f32 v71, v78, v79                            // 000000004608: D2680047 00029F4E
	v_cvt_pk_bf16_f32 v72, v80, v81                            // 000000004610: D2680048 0002A350
	v_cvt_pk_bf16_f32 v73, v82, v83                            // 000000004618: D2680049 0002A752
	v_cvt_pk_bf16_f32 v74, v84, v85                            // 000000004620: D268004A 0002AB54
	v_cvt_pk_bf16_f32 v75, v86, v87                            // 000000004628: D268004B 0002AF56
	v_cvt_pk_bf16_f32 v76, v88, v89                            // 000000004630: D268004C 0002B358
	v_cvt_pk_bf16_f32 v77, v90, v91                            // 000000004638: D268004D 0002B75A
	v_cvt_pk_bf16_f32 v78, v92, v93                            // 000000004640: D268004E 0002BB5C
	v_cvt_pk_bf16_f32 v79, v94, v95                            // 000000004648: D268004F 0002BF5E
	v_cvt_pk_bf16_f32 v80, v96, v97                            // 000000004650: D2680050 0002C360
	v_cvt_pk_bf16_f32 v81, v98, v99                            // 000000004658: D2680051 0002C762
	v_cvt_pk_bf16_f32 v82, v100, v101                          // 000000004660: D2680052 0002CB64
	v_cvt_pk_bf16_f32 v83, v102, v103                          // 000000004668: D2680053 0002CF66
	v_cvt_pk_bf16_f32 v84, v104, v105                          // 000000004670: D2680054 0002D368
	v_cvt_pk_bf16_f32 v85, v106, v107                          // 000000004678: D2680055 0002D76A
	v_cvt_pk_bf16_f32 v86, v108, v109                          // 000000004680: D2680056 0002DB6C
	v_cvt_pk_bf16_f32 v87, v110, v111                          // 000000004688: D2680057 0002DF6E
	v_cvt_pk_bf16_f32 v88, v112, v113                          // 000000004690: D2680058 0002E370
	v_cvt_pk_bf16_f32 v89, v114, v115                          // 000000004698: D2680059 0002E772
	v_cvt_pk_bf16_f32 v90, v116, v117                          // 0000000046A0: D268005A 0002EB74
	v_cvt_pk_bf16_f32 v91, v118, v119                          // 0000000046A8: D268005B 0002EF76
	v_cvt_pk_bf16_f32 v92, v120, v121                          // 0000000046B0: D268005C 0002F378
	v_cvt_pk_bf16_f32 v93, v122, v123                          // 0000000046B8: D268005D 0002F77A
	v_cvt_pk_bf16_f32 v94, v124, v125                          // 0000000046C0: D268005E 0002FB7C
	v_cvt_pk_bf16_f32 v95, v126, v127                          // 0000000046C8: D268005F 0002FF7E
	ds_write_b64 v16, v[64:65]                                 // 0000000046D0: D89A0000 00004010
	ds_write_b64 v16, v[66:67] offset:4352                     // 0000000046D8: D89A1100 00004210
	ds_write_b64 v16, v[68:69] offset:8704                     // 0000000046E0: D89A2200 00004410
	ds_write_b64 v16, v[70:71] offset:13056                    // 0000000046E8: D89A3300 00004610
	ds_write_b64 v16, v[72:73] offset:17408                    // 0000000046F0: D89A4400 00004810
	ds_write_b64 v16, v[74:75] offset:21760                    // 0000000046F8: D89A5500 00004A10
	ds_write_b64 v16, v[76:77] offset:26112                    // 000000004700: D89A6600 00004C10
	ds_write_b64 v16, v[78:79] offset:30464                    // 000000004708: D89A7700 00004E10
	ds_write_b64 v16, v[80:81] offset:2176                     // 000000004710: D89A0880 00005010
	ds_write_b64 v16, v[82:83] offset:6528                     // 000000004718: D89A1980 00005210
	ds_write_b64 v16, v[84:85] offset:10880                    // 000000004720: D89A2A80 00005410
	ds_write_b64 v16, v[86:87] offset:15232                    // 000000004728: D89A3B80 00005610
	ds_write_b64 v16, v[88:89] offset:19584                    // 000000004730: D89A4C80 00005810
	ds_write_b64 v16, v[90:91] offset:23936                    // 000000004738: D89A5D80 00005A10
	ds_write_b64 v16, v[92:93] offset:28288                    // 000000004740: D89A6E80 00005C10
	ds_write_b64 v16, v[94:95] offset:32640                    // 000000004748: D89A7F80 00005E10
	v_cvt_pk_bf16_f32 v128, v128, v129                         // 000000004750: D2680080 00030380
	v_cvt_pk_bf16_f32 v129, v130, v131                         // 000000004758: D2680081 00030782
	v_cvt_pk_bf16_f32 v130, v132, v133                         // 000000004760: D2680082 00030B84
	v_cvt_pk_bf16_f32 v131, v134, v135                         // 000000004768: D2680083 00030F86
	v_cvt_pk_bf16_f32 v132, v136, v137                         // 000000004770: D2680084 00031388
	v_cvt_pk_bf16_f32 v133, v138, v139                         // 000000004778: D2680085 0003178A
	v_cvt_pk_bf16_f32 v134, v140, v141                         // 000000004780: D2680086 00031B8C
	v_cvt_pk_bf16_f32 v135, v142, v143                         // 000000004788: D2680087 00031F8E
	v_cvt_pk_bf16_f32 v136, v144, v145                         // 000000004790: D2680088 00032390
	v_cvt_pk_bf16_f32 v137, v146, v147                         // 000000004798: D2680089 00032792
	v_cvt_pk_bf16_f32 v138, v148, v149                         // 0000000047A0: D268008A 00032B94
	v_cvt_pk_bf16_f32 v139, v150, v151                         // 0000000047A8: D268008B 00032F96
	v_cvt_pk_bf16_f32 v140, v152, v153                         // 0000000047B0: D268008C 00033398
	v_cvt_pk_bf16_f32 v141, v154, v155                         // 0000000047B8: D268008D 0003379A
	v_cvt_pk_bf16_f32 v142, v156, v157                         // 0000000047C0: D268008E 00033B9C
	v_cvt_pk_bf16_f32 v143, v158, v159                         // 0000000047C8: D268008F 00033F9E
	v_cvt_pk_bf16_f32 v144, v160, v161                         // 0000000047D0: D2680090 000343A0
	v_cvt_pk_bf16_f32 v145, v162, v163                         // 0000000047D8: D2680091 000347A2
	v_cvt_pk_bf16_f32 v146, v164, v165                         // 0000000047E0: D2680092 00034BA4
	v_cvt_pk_bf16_f32 v147, v166, v167                         // 0000000047E8: D2680093 00034FA6
	v_cvt_pk_bf16_f32 v148, v168, v169                         // 0000000047F0: D2680094 000353A8
	v_cvt_pk_bf16_f32 v149, v170, v171                         // 0000000047F8: D2680095 000357AA
	v_cvt_pk_bf16_f32 v150, v172, v173                         // 000000004800: D2680096 00035BAC
	v_cvt_pk_bf16_f32 v151, v174, v175                         // 000000004808: D2680097 00035FAE
	v_cvt_pk_bf16_f32 v152, v176, v177                         // 000000004810: D2680098 000363B0
	v_cvt_pk_bf16_f32 v153, v178, v179                         // 000000004818: D2680099 000367B2
	v_cvt_pk_bf16_f32 v154, v180, v181                         // 000000004820: D268009A 00036BB4
	v_cvt_pk_bf16_f32 v155, v182, v183                         // 000000004828: D268009B 00036FB6
	v_cvt_pk_bf16_f32 v156, v184, v185                         // 000000004830: D268009C 000373B8
	v_cvt_pk_bf16_f32 v157, v186, v187                         // 000000004838: D268009D 000377BA
	v_cvt_pk_bf16_f32 v158, v188, v189                         // 000000004840: D268009E 00037BBC
	v_cvt_pk_bf16_f32 v159, v190, v191                         // 000000004848: D268009F 00037FBE
	v_lshrrev_b32_e32 v4, 5, v0                                // 000000004850: 20080085
	v_xor_b32_e32 v5, 1, v4                                    // 000000004854: 2A0A0881
	s_mul_i32 s52, s61, 2                                      // 000000004858: 9234823D
	s_cmp_eq_u32 s74, 0                                        // 00000000485C: BF06804A
	s_cselect_b32 s53, 1, 4                                    // 000000004860: 85358481
	s_mul_i32 s52, s53, s52                                    // 000000004864: 92343435
	v_readlane_b32 s72, v3, 0                                  // 000000004868: D2890048 00010103
	s_mul_i32 s72, s72, s66                                    // 000000004870: 92484248
	v_mul_lo_u32 v6, v5, s72                                   // 000000004874: D2850006 00009105
	v_readlane_b32 s72, v3, 1                                  // 00000000487C: D2890048 00010303
	s_mul_i32 s72, s72, s66                                    // 000000004884: 92484248
	v_mul_lo_u32 v7, v4, s72                                   // 000000004888: D2850007 00009104
	v_add_u32_e32 v96, v6, v7                                  // 000000004890: 68C00F06
	v_readlane_b32 s72, v3, 2                                  // 000000004894: D2890048 00010503
	s_mul_i32 s72, s72, s66                                    // 00000000489C: 92484248
	v_mul_lo_u32 v6, v5, s72                                   // 0000000048A0: D2850006 00009105
	v_readlane_b32 s72, v3, 3                                  // 0000000048A8: D2890048 00010703
	s_mul_i32 s72, s72, s66                                    // 0000000048B0: 92484248
	v_mul_lo_u32 v7, v4, s72                                   // 0000000048B4: D2850007 00009104
	v_add_u32_e32 v97, v6, v7                                  // 0000000048BC: 68C20F06
	v_readlane_b32 s72, v3, 4                                  // 0000000048C0: D2890048 00010903
	s_mul_i32 s72, s72, s66                                    // 0000000048C8: 92484248
	v_mul_lo_u32 v6, v5, s72                                   // 0000000048CC: D2850006 00009105
	v_readlane_b32 s72, v3, 5                                  // 0000000048D4: D2890048 00010B03
	s_mul_i32 s72, s72, s66                                    // 0000000048DC: 92484248
	v_mul_lo_u32 v7, v4, s72                                   // 0000000048E0: D2850007 00009104
	v_add_u32_e32 v98, v6, v7                                  // 0000000048E8: 68C40F06
	v_readlane_b32 s72, v3, 6                                  // 0000000048EC: D2890048 00010D03
	s_mul_i32 s72, s72, s66                                    // 0000000048F4: 92484248
	v_mul_lo_u32 v6, v5, s72                                   // 0000000048F8: D2850006 00009105
	v_readlane_b32 s72, v3, 7                                  // 000000004900: D2890048 00010F03
	s_mul_i32 s72, s72, s66                                    // 000000004908: 92484248
	v_mul_lo_u32 v7, v4, s72                                   // 00000000490C: D2850007 00009104
	v_add_u32_e32 v99, v6, v7                                  // 000000004914: 68C60F06
	v_readlane_b32 s72, v3, 8                                  // 000000004918: D2890048 00011103
	s_mul_i32 s72, s72, s66                                    // 000000004920: 92484248
	v_mul_lo_u32 v6, v5, s72                                   // 000000004924: D2850006 00009105
	v_readlane_b32 s72, v3, 9                                  // 00000000492C: D2890048 00011303
	s_mul_i32 s72, s72, s66                                    // 000000004934: 92484248
	v_mul_lo_u32 v7, v4, s72                                   // 000000004938: D2850007 00009104
	v_add_u32_e32 v100, v6, v7                                 // 000000004940: 68C80F06
	v_readlane_b32 s72, v3, 10                                 // 000000004944: D2890048 00011503
	s_mul_i32 s72, s72, s66                                    // 00000000494C: 92484248
	v_mul_lo_u32 v6, v5, s72                                   // 000000004950: D2850006 00009105
	v_readlane_b32 s72, v3, 11                                 // 000000004958: D2890048 00011703
	s_mul_i32 s72, s72, s66                                    // 000000004960: 92484248
	v_mul_lo_u32 v7, v4, s72                                   // 000000004964: D2850007 00009104
	v_add_u32_e32 v101, v6, v7                                 // 00000000496C: 68CA0F06
	v_readlane_b32 s72, v3, 12                                 // 000000004970: D2890048 00011903
	s_mul_i32 s72, s72, s66                                    // 000000004978: 92484248
	v_mul_lo_u32 v6, v5, s72                                   // 00000000497C: D2850006 00009105
	v_readlane_b32 s72, v3, 13                                 // 000000004984: D2890048 00011B03
	s_mul_i32 s72, s72, s66                                    // 00000000498C: 92484248
	v_mul_lo_u32 v7, v4, s72                                   // 000000004990: D2850007 00009104
	v_add_u32_e32 v102, v6, v7                                 // 000000004998: 68CC0F06
	v_readlane_b32 s72, v3, 14                                 // 00000000499C: D2890048 00011D03
	s_mul_i32 s72, s72, s66                                    // 0000000049A4: 92484248
	v_mul_lo_u32 v6, v5, s72                                   // 0000000049A8: D2850006 00009105
	v_readlane_b32 s72, v3, 15                                 // 0000000049B0: D2890048 00011F03
	s_mul_i32 s72, s72, s66                                    // 0000000049B8: 92484248
	v_mul_lo_u32 v7, v4, s72                                   // 0000000049BC: D2850007 00009104
	v_add_u32_e32 v103, v6, v7                                 // 0000000049C4: 68CE0F06
	v_readlane_b32 s72, v3, 16                                 // 0000000049C8: D2890048 00012103
	s_mul_i32 s72, s72, s66                                    // 0000000049D0: 92484248
	v_mul_lo_u32 v6, v5, s72                                   // 0000000049D4: D2850006 00009105
	v_readlane_b32 s72, v3, 17                                 // 0000000049DC: D2890048 00012303
	s_mul_i32 s72, s72, s66                                    // 0000000049E4: 92484248
	v_mul_lo_u32 v7, v4, s72                                   // 0000000049E8: D2850007 00009104
	v_add_u32_e32 v104, v6, v7                                 // 0000000049F0: 68D00F06
	v_readlane_b32 s72, v3, 18                                 // 0000000049F4: D2890048 00012503
	s_mul_i32 s72, s72, s66                                    // 0000000049FC: 92484248
	v_mul_lo_u32 v6, v5, s72                                   // 000000004A00: D2850006 00009105
	v_readlane_b32 s72, v3, 19                                 // 000000004A08: D2890048 00012703
	s_mul_i32 s72, s72, s66                                    // 000000004A10: 92484248
	v_mul_lo_u32 v7, v4, s72                                   // 000000004A14: D2850007 00009104
	v_add_u32_e32 v105, v6, v7                                 // 000000004A1C: 68D20F06
	v_readlane_b32 s72, v3, 20                                 // 000000004A20: D2890048 00012903
	s_mul_i32 s72, s72, s66                                    // 000000004A28: 92484248
	v_mul_lo_u32 v6, v5, s72                                   // 000000004A2C: D2850006 00009105
	v_readlane_b32 s72, v3, 21                                 // 000000004A34: D2890048 00012B03
	s_mul_i32 s72, s72, s66                                    // 000000004A3C: 92484248
	v_mul_lo_u32 v7, v4, s72                                   // 000000004A40: D2850007 00009104
	v_add_u32_e32 v106, v6, v7                                 // 000000004A48: 68D40F06
	v_readlane_b32 s72, v3, 22                                 // 000000004A4C: D2890048 00012D03
	s_mul_i32 s72, s72, s66                                    // 000000004A54: 92484248
	v_mul_lo_u32 v6, v5, s72                                   // 000000004A58: D2850006 00009105
	v_readlane_b32 s72, v3, 23                                 // 000000004A60: D2890048 00012F03
	s_mul_i32 s72, s72, s66                                    // 000000004A68: 92484248
	v_mul_lo_u32 v7, v4, s72                                   // 000000004A6C: D2850007 00009104
	v_add_u32_e32 v107, v6, v7                                 // 000000004A74: 68D60F06
	v_readlane_b32 s72, v3, 24                                 // 000000004A78: D2890048 00013103
	s_mul_i32 s72, s72, s66                                    // 000000004A80: 92484248
	v_mul_lo_u32 v6, v5, s72                                   // 000000004A84: D2850006 00009105
	v_readlane_b32 s72, v3, 25                                 // 000000004A8C: D2890048 00013303
	s_mul_i32 s72, s72, s66                                    // 000000004A94: 92484248
	v_mul_lo_u32 v7, v4, s72                                   // 000000004A98: D2850007 00009104
	v_add_u32_e32 v108, v6, v7                                 // 000000004AA0: 68D80F06
	v_readlane_b32 s72, v3, 26                                 // 000000004AA4: D2890048 00013503
	s_mul_i32 s72, s72, s66                                    // 000000004AAC: 92484248
	v_mul_lo_u32 v6, v5, s72                                   // 000000004AB0: D2850006 00009105
	v_readlane_b32 s72, v3, 27                                 // 000000004AB8: D2890048 00013703
	s_mul_i32 s72, s72, s66                                    // 000000004AC0: 92484248
	v_mul_lo_u32 v7, v4, s72                                   // 000000004AC4: D2850007 00009104
	v_add_u32_e32 v109, v6, v7                                 // 000000004ACC: 68DA0F06
	v_readlane_b32 s72, v3, 28                                 // 000000004AD0: D2890048 00013903
	s_mul_i32 s72, s72, s66                                    // 000000004AD8: 92484248
	v_mul_lo_u32 v6, v5, s72                                   // 000000004ADC: D2850006 00009105
	v_readlane_b32 s72, v3, 29                                 // 000000004AE4: D2890048 00013B03
	s_mul_i32 s72, s72, s66                                    // 000000004AEC: 92484248
	v_mul_lo_u32 v7, v4, s72                                   // 000000004AF0: D2850007 00009104
	v_add_u32_e32 v110, v6, v7                                 // 000000004AF8: 68DC0F06
	v_readlane_b32 s72, v3, 30                                 // 000000004AFC: D2890048 00013D03
	s_mul_i32 s72, s72, s66                                    // 000000004B04: 92484248
	v_mul_lo_u32 v6, v5, s72                                   // 000000004B08: D2850006 00009105
	v_readlane_b32 s72, v3, 31                                 // 000000004B10: D2890048 00013F03
	s_mul_i32 s72, s72, s66                                    // 000000004B18: 92484248
	v_mul_lo_u32 v7, v4, s72                                   // 000000004B1C: D2850007 00009104
	v_add_u32_e32 v111, v6, v7                                 // 000000004B24: 68DE0F06
	v_and_b32_e32 v4, 31, v0                                   // 000000004B28: 2608009F
	v_lshrrev_b32_e32 v4, 1, v4                                // 000000004B2C: 20080881
	s_cmp_eq_u32 s74, 0                                        // 000000004B30: BF06804A
	s_cselect_b32 s53, 2, 4                                    // 000000004B34: 85358482
	v_mul_lo_u32 v4, v4, s53                                   // 000000004B38: D2850004 00006B04
	v_and_b32_e64 v5, v0, 1                                    // 000000004B40: D1130005 00010300
	v_add_u32_e32 v4, v4, v5                                   // 000000004B48: 68080B04
	v_lshlrev_b32_e32 v4, 2, v4                                // 000000004B4C: 24080882
	v_add_u32_e32 v96, v96, v4                                 // 000000004B50: 68C00960
	v_add_u32_e32 v97, v97, v4                                 // 000000004B54: 68C20961
	v_add_u32_e32 v98, v98, v4                                 // 000000004B58: 68C40962
	v_add_u32_e32 v99, v99, v4                                 // 000000004B5C: 68C60963
	v_add_u32_e32 v100, v100, v4                               // 000000004B60: 68C80964
	v_add_u32_e32 v101, v101, v4                               // 000000004B64: 68CA0965
	v_add_u32_e32 v102, v102, v4                               // 000000004B68: 68CC0966
	v_add_u32_e32 v103, v103, v4                               // 000000004B6C: 68CE0967
	v_add_u32_e32 v104, v104, v4                               // 000000004B70: 68D00968
	v_add_u32_e32 v105, v105, v4                               // 000000004B74: 68D20969
	v_add_u32_e32 v106, v106, v4                               // 000000004B78: 68D4096A
	v_add_u32_e32 v107, v107, v4                               // 000000004B7C: 68D6096B
	v_add_u32_e32 v108, v108, v4                               // 000000004B80: 68D8096C
	v_add_u32_e32 v109, v109, v4                               // 000000004B84: 68DA096D
	v_add_u32_e32 v110, v110, v4                               // 000000004B88: 68DC096E
	v_add_u32_e32 v111, v111, v4                               // 000000004B8C: 68DE096F
	s_waitcnt lgkmcnt(0)                                       // 000000004B90: BF8CC07F
	s_barrier                                                  // 000000004B94: BF8A0000
	ds_read_b32 v64, v17                                       // 000000004B98: D86C0000 40000011
	ds_read_b32 v65, v17 offset:64                             // 000000004BA0: D86C0040 41000011
	ds_read_b32 v66, v17 offset:2176                           // 000000004BA8: D86C0880 42000011
	ds_read_b32 v67, v17 offset:2240                           // 000000004BB0: D86C08C0 43000011
	ds_read_b32 v68, v17 offset:4352                           // 000000004BB8: D86C1100 44000011
	ds_read_b32 v69, v17 offset:4416                           // 000000004BC0: D86C1140 45000011
	ds_read_b32 v70, v17 offset:6528                           // 000000004BC8: D86C1980 46000011
	ds_read_b32 v71, v17 offset:6592                           // 000000004BD0: D86C19C0 47000011
	ds_read_b32 v72, v17 offset:8704                           // 000000004BD8: D86C2200 48000011
	ds_read_b32 v73, v17 offset:8768                           // 000000004BE0: D86C2240 49000011
	ds_read_b32 v74, v17 offset:10880                          // 000000004BE8: D86C2A80 4A000011
	ds_read_b32 v75, v17 offset:10944                          // 000000004BF0: D86C2AC0 4B000011
	ds_read_b32 v76, v17 offset:13056                          // 000000004BF8: D86C3300 4C000011
	ds_read_b32 v77, v17 offset:13120                          // 000000004C00: D86C3340 4D000011
	ds_read_b32 v78, v17 offset:15232                          // 000000004C08: D86C3B80 4E000011
	ds_read_b32 v79, v17 offset:15296                          // 000000004C10: D86C3BC0 4F000011
	ds_read_b32 v80, v17 offset:17408                          // 000000004C18: D86C4400 50000011
	ds_read_b32 v81, v17 offset:17472                          // 000000004C20: D86C4440 51000011
	ds_read_b32 v82, v17 offset:19584                          // 000000004C28: D86C4C80 52000011
	ds_read_b32 v83, v17 offset:19648                          // 000000004C30: D86C4CC0 53000011
	ds_read_b32 v84, v17 offset:21760                          // 000000004C38: D86C5500 54000011
	ds_read_b32 v85, v17 offset:21824                          // 000000004C40: D86C5540 55000011
	ds_read_b32 v86, v17 offset:23936                          // 000000004C48: D86C5D80 56000011
	ds_read_b32 v87, v17 offset:24000                          // 000000004C50: D86C5DC0 57000011
	ds_read_b32 v88, v17 offset:26112                          // 000000004C58: D86C6600 58000011
	ds_read_b32 v89, v17 offset:26176                          // 000000004C60: D86C6640 59000011
	ds_read_b32 v90, v17 offset:28288                          // 000000004C68: D86C6E80 5A000011
	ds_read_b32 v91, v17 offset:28352                          // 000000004C70: D86C6EC0 5B000011
	ds_read_b32 v92, v17 offset:30464                          // 000000004C78: D86C7700 5C000011
	ds_read_b32 v93, v17 offset:30528                          // 000000004C80: D86C7740 5D000011
	ds_read_b32 v94, v17 offset:32640                          // 000000004C88: D86C7F80 5E000011
	ds_read_b32 v95, v17 offset:32704                          // 000000004C90: D86C7FC0 5F000011
	s_waitcnt lgkmcnt(0)                                       // 000000004C98: BF8CC07F
	s_mov_b32 s16, -1                                          // 000000004C9C: BE9000C1
	s_mov_b32 s17, -1                                          // 000000004CA0: BE9100C1
	v_mov_b32_e32 v7, 0                                        // 000000004CA4: 7E0E0280
	s_or_b32 s9, s9, 0x40000                                   // 000000004CA8: 8709FF09 00040000
	s_mov_b64 exec, s[16:17]                                   // 000000004CB0: BEFE0110
	v_mov_b32_e32 v6, v96                                      // 000000004CB4: 7E0C0360
	s_mov_b64 s[52:53], 0                                      // 000000004CB8: BEB40180
	v_readlane_b32 s72, v3, 0                                  // 000000004CBC: D2890048 00010103
	s_cmp_lt_u32 s72, s62                                      // 000000004CC4: BF0A3E48
	s_cselect_b32 s20, s16, s52                                // 000000004CC8: 85143410
	v_readlane_b32 s72, v3, 1                                  // 000000004CCC: D2890048 00010303
	s_cmp_lt_u32 s72, s62                                      // 000000004CD4: BF0A3E48
	s_cselect_b32 s21, s16, s52                                // 000000004CD8: 85153410
	s_mov_b64 exec, s[20:21]                                   // 000000004CDC: BEFE0114
	buffer_store_dword v64, v6, s[8:11], 0 offen               // 000000004CE0: E0701000 80024006
	buffer_store_dword v66, v6, s[8:11], 0 offen offset:128    // 000000004CE8: E0701080 80024206
	s_mov_b64 exec, s[16:17]                                   // 000000004CF0: BEFE0110
	v_mov_b32_e32 v6, v97                                      // 000000004CF4: 7E0C0361
	s_mov_b64 s[52:53], 0                                      // 000000004CF8: BEB40180
	v_readlane_b32 s72, v3, 2                                  // 000000004CFC: D2890048 00010503
	s_cmp_lt_u32 s72, s62                                      // 000000004D04: BF0A3E48
	s_cselect_b32 s20, s16, s52                                // 000000004D08: 85143410
	v_readlane_b32 s72, v3, 3                                  // 000000004D0C: D2890048 00010703
	s_cmp_lt_u32 s72, s62                                      // 000000004D14: BF0A3E48
	s_cselect_b32 s21, s16, s52                                // 000000004D18: 85153410
	s_mov_b64 exec, s[20:21]                                   // 000000004D1C: BEFE0114
	buffer_store_dword v65, v6, s[8:11], 0 offen               // 000000004D20: E0701000 80024106
	buffer_store_dword v67, v6, s[8:11], 0 offen offset:128    // 000000004D28: E0701080 80024306
	s_mov_b64 exec, s[16:17]                                   // 000000004D30: BEFE0110
	v_mov_b32_e32 v6, v98                                      // 000000004D34: 7E0C0362
	s_mov_b64 s[52:53], 0                                      // 000000004D38: BEB40180
	v_readlane_b32 s72, v3, 4                                  // 000000004D3C: D2890048 00010903
	s_cmp_lt_u32 s72, s62                                      // 000000004D44: BF0A3E48
	s_cselect_b32 s20, s16, s52                                // 000000004D48: 85143410
	v_readlane_b32 s72, v3, 5                                  // 000000004D4C: D2890048 00010B03
	s_cmp_lt_u32 s72, s62                                      // 000000004D54: BF0A3E48
	s_cselect_b32 s21, s16, s52                                // 000000004D58: 85153410
	s_mov_b64 exec, s[20:21]                                   // 000000004D5C: BEFE0114
	buffer_store_dword v68, v6, s[8:11], 0 offen               // 000000004D60: E0701000 80024406
	buffer_store_dword v70, v6, s[8:11], 0 offen offset:128    // 000000004D68: E0701080 80024606
	s_mov_b64 exec, s[16:17]                                   // 000000004D70: BEFE0110
	v_mov_b32_e32 v6, v99                                      // 000000004D74: 7E0C0363
	s_mov_b64 s[52:53], 0                                      // 000000004D78: BEB40180
	v_readlane_b32 s72, v3, 6                                  // 000000004D7C: D2890048 00010D03
	s_cmp_lt_u32 s72, s62                                      // 000000004D84: BF0A3E48
	s_cselect_b32 s20, s16, s52                                // 000000004D88: 85143410
	v_readlane_b32 s72, v3, 7                                  // 000000004D8C: D2890048 00010F03
	s_cmp_lt_u32 s72, s62                                      // 000000004D94: BF0A3E48
	s_cselect_b32 s21, s16, s52                                // 000000004D98: 85153410
	s_mov_b64 exec, s[20:21]                                   // 000000004D9C: BEFE0114
	buffer_store_dword v69, v6, s[8:11], 0 offen               // 000000004DA0: E0701000 80024506
	buffer_store_dword v71, v6, s[8:11], 0 offen offset:128    // 000000004DA8: E0701080 80024706
	s_mov_b64 exec, s[16:17]                                   // 000000004DB0: BEFE0110
	v_mov_b32_e32 v6, v100                                     // 000000004DB4: 7E0C0364
	s_mov_b64 s[52:53], 0                                      // 000000004DB8: BEB40180
	v_readlane_b32 s72, v3, 8                                  // 000000004DBC: D2890048 00011103
	s_cmp_lt_u32 s72, s62                                      // 000000004DC4: BF0A3E48
	s_cselect_b32 s20, s16, s52                                // 000000004DC8: 85143410
	v_readlane_b32 s72, v3, 9                                  // 000000004DCC: D2890048 00011303
	s_cmp_lt_u32 s72, s62                                      // 000000004DD4: BF0A3E48
	s_cselect_b32 s21, s16, s52                                // 000000004DD8: 85153410
	s_mov_b64 exec, s[20:21]                                   // 000000004DDC: BEFE0114
	buffer_store_dword v72, v6, s[8:11], 0 offen               // 000000004DE0: E0701000 80024806
	buffer_store_dword v74, v6, s[8:11], 0 offen offset:128    // 000000004DE8: E0701080 80024A06
	s_mov_b64 exec, s[16:17]                                   // 000000004DF0: BEFE0110
	v_mov_b32_e32 v6, v101                                     // 000000004DF4: 7E0C0365
	s_mov_b64 s[52:53], 0                                      // 000000004DF8: BEB40180
	v_readlane_b32 s72, v3, 10                                 // 000000004DFC: D2890048 00011503
	s_cmp_lt_u32 s72, s62                                      // 000000004E04: BF0A3E48
	s_cselect_b32 s20, s16, s52                                // 000000004E08: 85143410
	v_readlane_b32 s72, v3, 11                                 // 000000004E0C: D2890048 00011703
	s_cmp_lt_u32 s72, s62                                      // 000000004E14: BF0A3E48
	s_cselect_b32 s21, s16, s52                                // 000000004E18: 85153410
	s_mov_b64 exec, s[20:21]                                   // 000000004E1C: BEFE0114
	buffer_store_dword v73, v6, s[8:11], 0 offen               // 000000004E20: E0701000 80024906
	buffer_store_dword v75, v6, s[8:11], 0 offen offset:128    // 000000004E28: E0701080 80024B06
	s_mov_b64 exec, s[16:17]                                   // 000000004E30: BEFE0110
	v_mov_b32_e32 v6, v102                                     // 000000004E34: 7E0C0366
	s_mov_b64 s[52:53], 0                                      // 000000004E38: BEB40180
	v_readlane_b32 s72, v3, 12                                 // 000000004E3C: D2890048 00011903
	s_cmp_lt_u32 s72, s62                                      // 000000004E44: BF0A3E48
	s_cselect_b32 s20, s16, s52                                // 000000004E48: 85143410
	v_readlane_b32 s72, v3, 13                                 // 000000004E4C: D2890048 00011B03
	s_cmp_lt_u32 s72, s62                                      // 000000004E54: BF0A3E48
	s_cselect_b32 s21, s16, s52                                // 000000004E58: 85153410
	s_mov_b64 exec, s[20:21]                                   // 000000004E5C: BEFE0114
	buffer_store_dword v76, v6, s[8:11], 0 offen               // 000000004E60: E0701000 80024C06
	buffer_store_dword v78, v6, s[8:11], 0 offen offset:128    // 000000004E68: E0701080 80024E06
	s_mov_b64 exec, s[16:17]                                   // 000000004E70: BEFE0110
	v_mov_b32_e32 v6, v103                                     // 000000004E74: 7E0C0367
	s_mov_b64 s[52:53], 0                                      // 000000004E78: BEB40180
	v_readlane_b32 s72, v3, 14                                 // 000000004E7C: D2890048 00011D03
	s_cmp_lt_u32 s72, s62                                      // 000000004E84: BF0A3E48
	s_cselect_b32 s20, s16, s52                                // 000000004E88: 85143410
	v_readlane_b32 s72, v3, 15                                 // 000000004E8C: D2890048 00011F03
	s_cmp_lt_u32 s72, s62                                      // 000000004E94: BF0A3E48
	s_cselect_b32 s21, s16, s52                                // 000000004E98: 85153410
	s_mov_b64 exec, s[20:21]                                   // 000000004E9C: BEFE0114
	buffer_store_dword v77, v6, s[8:11], 0 offen               // 000000004EA0: E0701000 80024D06
	buffer_store_dword v79, v6, s[8:11], 0 offen offset:128    // 000000004EA8: E0701080 80024F06
	s_mov_b64 exec, s[16:17]                                   // 000000004EB0: BEFE0110
	v_mov_b32_e32 v6, v104                                     // 000000004EB4: 7E0C0368
	s_mov_b64 s[52:53], 0                                      // 000000004EB8: BEB40180
	v_readlane_b32 s72, v3, 16                                 // 000000004EBC: D2890048 00012103
	s_cmp_lt_u32 s72, s62                                      // 000000004EC4: BF0A3E48
	s_cselect_b32 s20, s16, s52                                // 000000004EC8: 85143410
	v_readlane_b32 s72, v3, 17                                 // 000000004ECC: D2890048 00012303
	s_cmp_lt_u32 s72, s62                                      // 000000004ED4: BF0A3E48
	s_cselect_b32 s21, s16, s52                                // 000000004ED8: 85153410
	s_mov_b64 exec, s[20:21]                                   // 000000004EDC: BEFE0114
	buffer_store_dword v80, v6, s[8:11], 0 offen               // 000000004EE0: E0701000 80025006
	buffer_store_dword v82, v6, s[8:11], 0 offen offset:128    // 000000004EE8: E0701080 80025206
	s_mov_b64 exec, s[16:17]                                   // 000000004EF0: BEFE0110
	v_mov_b32_e32 v6, v105                                     // 000000004EF4: 7E0C0369
	s_mov_b64 s[52:53], 0                                      // 000000004EF8: BEB40180
	v_readlane_b32 s72, v3, 18                                 // 000000004EFC: D2890048 00012503
	s_cmp_lt_u32 s72, s62                                      // 000000004F04: BF0A3E48
	s_cselect_b32 s20, s16, s52                                // 000000004F08: 85143410
	v_readlane_b32 s72, v3, 19                                 // 000000004F0C: D2890048 00012703
	s_cmp_lt_u32 s72, s62                                      // 000000004F14: BF0A3E48
	s_cselect_b32 s21, s16, s52                                // 000000004F18: 85153410
	s_mov_b64 exec, s[20:21]                                   // 000000004F1C: BEFE0114
	buffer_store_dword v81, v6, s[8:11], 0 offen               // 000000004F20: E0701000 80025106
	buffer_store_dword v83, v6, s[8:11], 0 offen offset:128    // 000000004F28: E0701080 80025306
	s_mov_b64 exec, s[16:17]                                   // 000000004F30: BEFE0110
	v_mov_b32_e32 v6, v106                                     // 000000004F34: 7E0C036A
	s_mov_b64 s[52:53], 0                                      // 000000004F38: BEB40180
	v_readlane_b32 s72, v3, 20                                 // 000000004F3C: D2890048 00012903
	s_cmp_lt_u32 s72, s62                                      // 000000004F44: BF0A3E48
	s_cselect_b32 s20, s16, s52                                // 000000004F48: 85143410
	v_readlane_b32 s72, v3, 21                                 // 000000004F4C: D2890048 00012B03
	s_cmp_lt_u32 s72, s62                                      // 000000004F54: BF0A3E48
	s_cselect_b32 s21, s16, s52                                // 000000004F58: 85153410
	s_mov_b64 exec, s[20:21]                                   // 000000004F5C: BEFE0114
	buffer_store_dword v84, v6, s[8:11], 0 offen               // 000000004F60: E0701000 80025406
	buffer_store_dword v86, v6, s[8:11], 0 offen offset:128    // 000000004F68: E0701080 80025606
	s_mov_b64 exec, s[16:17]                                   // 000000004F70: BEFE0110
	v_mov_b32_e32 v6, v107                                     // 000000004F74: 7E0C036B
	s_mov_b64 s[52:53], 0                                      // 000000004F78: BEB40180
	v_readlane_b32 s72, v3, 22                                 // 000000004F7C: D2890048 00012D03
	s_cmp_lt_u32 s72, s62                                      // 000000004F84: BF0A3E48
	s_cselect_b32 s20, s16, s52                                // 000000004F88: 85143410
	v_readlane_b32 s72, v3, 23                                 // 000000004F8C: D2890048 00012F03
	s_cmp_lt_u32 s72, s62                                      // 000000004F94: BF0A3E48
	s_cselect_b32 s21, s16, s52                                // 000000004F98: 85153410
	s_mov_b64 exec, s[20:21]                                   // 000000004F9C: BEFE0114
	buffer_store_dword v85, v6, s[8:11], 0 offen               // 000000004FA0: E0701000 80025506
	buffer_store_dword v87, v6, s[8:11], 0 offen offset:128    // 000000004FA8: E0701080 80025706
	s_mov_b64 exec, s[16:17]                                   // 000000004FB0: BEFE0110
	v_mov_b32_e32 v6, v108                                     // 000000004FB4: 7E0C036C
	s_mov_b64 s[52:53], 0                                      // 000000004FB8: BEB40180
	v_readlane_b32 s72, v3, 24                                 // 000000004FBC: D2890048 00013103
	s_cmp_lt_u32 s72, s62                                      // 000000004FC4: BF0A3E48
	s_cselect_b32 s20, s16, s52                                // 000000004FC8: 85143410
	v_readlane_b32 s72, v3, 25                                 // 000000004FCC: D2890048 00013303
	s_cmp_lt_u32 s72, s62                                      // 000000004FD4: BF0A3E48
	s_cselect_b32 s21, s16, s52                                // 000000004FD8: 85153410
	s_mov_b64 exec, s[20:21]                                   // 000000004FDC: BEFE0114
	buffer_store_dword v88, v6, s[8:11], 0 offen               // 000000004FE0: E0701000 80025806
	buffer_store_dword v90, v6, s[8:11], 0 offen offset:128    // 000000004FE8: E0701080 80025A06
	s_mov_b64 exec, s[16:17]                                   // 000000004FF0: BEFE0110
	v_mov_b32_e32 v6, v109                                     // 000000004FF4: 7E0C036D
	s_mov_b64 s[52:53], 0                                      // 000000004FF8: BEB40180
	v_readlane_b32 s72, v3, 26                                 // 000000004FFC: D2890048 00013503
	s_cmp_lt_u32 s72, s62                                      // 000000005004: BF0A3E48
	s_cselect_b32 s20, s16, s52                                // 000000005008: 85143410
	v_readlane_b32 s72, v3, 27                                 // 00000000500C: D2890048 00013703
	s_cmp_lt_u32 s72, s62                                      // 000000005014: BF0A3E48
	s_cselect_b32 s21, s16, s52                                // 000000005018: 85153410
	s_mov_b64 exec, s[20:21]                                   // 00000000501C: BEFE0114
	buffer_store_dword v89, v6, s[8:11], 0 offen               // 000000005020: E0701000 80025906
	buffer_store_dword v91, v6, s[8:11], 0 offen offset:128    // 000000005028: E0701080 80025B06
	s_mov_b64 exec, s[16:17]                                   // 000000005030: BEFE0110
	v_mov_b32_e32 v6, v110                                     // 000000005034: 7E0C036E
	s_mov_b64 s[52:53], 0                                      // 000000005038: BEB40180
	v_readlane_b32 s72, v3, 28                                 // 00000000503C: D2890048 00013903
	s_cmp_lt_u32 s72, s62                                      // 000000005044: BF0A3E48
	s_cselect_b32 s20, s16, s52                                // 000000005048: 85143410
	v_readlane_b32 s72, v3, 29                                 // 00000000504C: D2890048 00013B03
	s_cmp_lt_u32 s72, s62                                      // 000000005054: BF0A3E48
	s_cselect_b32 s21, s16, s52                                // 000000005058: 85153410
	s_mov_b64 exec, s[20:21]                                   // 00000000505C: BEFE0114
	buffer_store_dword v92, v6, s[8:11], 0 offen               // 000000005060: E0701000 80025C06
	buffer_store_dword v94, v6, s[8:11], 0 offen offset:128    // 000000005068: E0701080 80025E06
	s_mov_b64 exec, s[16:17]                                   // 000000005070: BEFE0110
	v_mov_b32_e32 v6, v111                                     // 000000005074: 7E0C036F
	s_mov_b64 s[52:53], 0                                      // 000000005078: BEB40180
	v_readlane_b32 s72, v3, 30                                 // 00000000507C: D2890048 00013D03
	s_cmp_lt_u32 s72, s62                                      // 000000005084: BF0A3E48
	s_cselect_b32 s20, s16, s52                                // 000000005088: 85143410
	v_readlane_b32 s72, v3, 31                                 // 00000000508C: D2890048 00013F03
	s_cmp_lt_u32 s72, s62                                      // 000000005094: BF0A3E48
	s_cselect_b32 s21, s16, s52                                // 000000005098: 85153410
	s_mov_b64 exec, s[20:21]                                   // 00000000509C: BEFE0114
	buffer_store_dword v93, v6, s[8:11], 0 offen               // 0000000050A0: E0701000 80025D06
	buffer_store_dword v95, v6, s[8:11], 0 offen offset:128    // 0000000050A8: E0701080 80025F06
	s_mov_b64 exec, s[16:17]                                   // 0000000050B0: BEFE0110
	s_waitcnt lgkmcnt(0)                                       // 0000000050B4: BF8CC07F
	s_barrier                                                  // 0000000050B8: BF8A0000
	ds_write_b64 v16, v[128:129]                               // 0000000050BC: D89A0000 00008010
	ds_write_b64 v16, v[130:131] offset:4352                   // 0000000050C4: D89A1100 00008210
	ds_write_b64 v16, v[132:133] offset:8704                   // 0000000050CC: D89A2200 00008410
	ds_write_b64 v16, v[134:135] offset:13056                  // 0000000050D4: D89A3300 00008610
	ds_write_b64 v16, v[136:137] offset:17408                  // 0000000050DC: D89A4400 00008810
	ds_write_b64 v16, v[138:139] offset:21760                  // 0000000050E4: D89A5500 00008A10
	ds_write_b64 v16, v[140:141] offset:26112                  // 0000000050EC: D89A6600 00008C10
	ds_write_b64 v16, v[142:143] offset:30464                  // 0000000050F4: D89A7700 00008E10
	ds_write_b64 v16, v[144:145] offset:2176                   // 0000000050FC: D89A0880 00009010
	ds_write_b64 v16, v[146:147] offset:6528                   // 000000005104: D89A1980 00009210
	ds_write_b64 v16, v[148:149] offset:10880                  // 00000000510C: D89A2A80 00009410
	ds_write_b64 v16, v[150:151] offset:15232                  // 000000005114: D89A3B80 00009610
	ds_write_b64 v16, v[152:153] offset:19584                  // 00000000511C: D89A4C80 00009810
	ds_write_b64 v16, v[154:155] offset:23936                  // 000000005124: D89A5D80 00009A10
	ds_write_b64 v16, v[156:157] offset:28288                  // 00000000512C: D89A6E80 00009C10
	ds_write_b64 v16, v[158:159] offset:32640                  // 000000005134: D89A7F80 00009E10
	s_waitcnt lgkmcnt(0)                                       // 00000000513C: BF8CC07F
	s_barrier                                                  // 000000005140: BF8A0000
	ds_read_b32 v128, v17                                      // 000000005144: D86C0000 80000011
	ds_read_b32 v129, v17 offset:64                            // 00000000514C: D86C0040 81000011
	ds_read_b32 v130, v17 offset:2176                          // 000000005154: D86C0880 82000011
	ds_read_b32 v131, v17 offset:2240                          // 00000000515C: D86C08C0 83000011
	ds_read_b32 v132, v17 offset:4352                          // 000000005164: D86C1100 84000011
	ds_read_b32 v133, v17 offset:4416                          // 00000000516C: D86C1140 85000011
	ds_read_b32 v134, v17 offset:6528                          // 000000005174: D86C1980 86000011
	ds_read_b32 v135, v17 offset:6592                          // 00000000517C: D86C19C0 87000011
	ds_read_b32 v136, v17 offset:8704                          // 000000005184: D86C2200 88000011
	ds_read_b32 v137, v17 offset:8768                          // 00000000518C: D86C2240 89000011
	ds_read_b32 v138, v17 offset:10880                         // 000000005194: D86C2A80 8A000011
	ds_read_b32 v139, v17 offset:10944                         // 00000000519C: D86C2AC0 8B000011
	ds_read_b32 v140, v17 offset:13056                         // 0000000051A4: D86C3300 8C000011
	ds_read_b32 v141, v17 offset:13120                         // 0000000051AC: D86C3340 8D000011
	ds_read_b32 v142, v17 offset:15232                         // 0000000051B4: D86C3B80 8E000011
	ds_read_b32 v143, v17 offset:15296                         // 0000000051BC: D86C3BC0 8F000011
	ds_read_b32 v144, v17 offset:17408                         // 0000000051C4: D86C4400 90000011
	ds_read_b32 v145, v17 offset:17472                         // 0000000051CC: D86C4440 91000011
	ds_read_b32 v146, v17 offset:19584                         // 0000000051D4: D86C4C80 92000011
	ds_read_b32 v147, v17 offset:19648                         // 0000000051DC: D86C4CC0 93000011
	ds_read_b32 v148, v17 offset:21760                         // 0000000051E4: D86C5500 94000011
	ds_read_b32 v149, v17 offset:21824                         // 0000000051EC: D86C5540 95000011
	ds_read_b32 v150, v17 offset:23936                         // 0000000051F4: D86C5D80 96000011
	ds_read_b32 v151, v17 offset:24000                         // 0000000051FC: D86C5DC0 97000011
	ds_read_b32 v152, v17 offset:26112                         // 000000005204: D86C6600 98000011
	ds_read_b32 v153, v17 offset:26176                         // 00000000520C: D86C6640 99000011
	ds_read_b32 v154, v17 offset:28288                         // 000000005214: D86C6E80 9A000011
	ds_read_b32 v155, v17 offset:28352                         // 00000000521C: D86C6EC0 9B000011
	ds_read_b32 v156, v17 offset:30464                         // 000000005224: D86C7700 9C000011
	ds_read_b32 v157, v17 offset:30528                         // 00000000522C: D86C7740 9D000011
	ds_read_b32 v158, v17 offset:32640                         // 000000005234: D86C7F80 9E000011
	ds_read_b32 v159, v17 offset:32704                         // 00000000523C: D86C7FC0 9F000011
	s_waitcnt lgkmcnt(0)                                       // 000000005244: BF8CC07F
	s_mov_b32 s16, -1                                          // 000000005248: BE9000C1
	s_mov_b32 s17, -1                                          // 00000000524C: BE9100C1
	v_mov_b32_e32 v7, 0                                        // 000000005250: 7E0E0280
	s_add_u32 s8, 0x100, s8                                    // 000000005254: 800808FF 00000100
	s_addc_u32 s9, 0, s9                                       // 00000000525C: 82090980
	s_or_b32 s9, s9, 0x40000                                   // 000000005260: 8709FF09 00040000
	s_mov_b64 exec, s[16:17]                                   // 000000005268: BEFE0110
	v_mov_b32_e32 v6, v96                                      // 00000000526C: 7E0C0360
	s_mov_b64 s[52:53], 0                                      // 000000005270: BEB40180
	v_readlane_b32 s72, v3, 0                                  // 000000005274: D2890048 00010103
	s_cmp_lt_u32 s72, s62                                      // 00000000527C: BF0A3E48
	s_cselect_b32 s20, s16, s52                                // 000000005280: 85143410
	v_readlane_b32 s72, v3, 1                                  // 000000005284: D2890048 00010303
	s_cmp_lt_u32 s72, s62                                      // 00000000528C: BF0A3E48
	s_cselect_b32 s21, s16, s52                                // 000000005290: 85153410
	s_mov_b64 exec, s[20:21]                                   // 000000005294: BEFE0114
	buffer_store_dword v128, v6, s[8:11], 0 offen              // 000000005298: E0701000 80028006
	buffer_store_dword v130, v6, s[8:11], 0 offen offset:128   // 0000000052A0: E0701080 80028206
	s_mov_b64 exec, s[16:17]                                   // 0000000052A8: BEFE0110
	v_mov_b32_e32 v6, v97                                      // 0000000052AC: 7E0C0361
	s_mov_b64 s[52:53], 0                                      // 0000000052B0: BEB40180
	v_readlane_b32 s72, v3, 2                                  // 0000000052B4: D2890048 00010503
	s_cmp_lt_u32 s72, s62                                      // 0000000052BC: BF0A3E48
	s_cselect_b32 s20, s16, s52                                // 0000000052C0: 85143410
	v_readlane_b32 s72, v3, 3                                  // 0000000052C4: D2890048 00010703
	s_cmp_lt_u32 s72, s62                                      // 0000000052CC: BF0A3E48
	s_cselect_b32 s21, s16, s52                                // 0000000052D0: 85153410
	s_mov_b64 exec, s[20:21]                                   // 0000000052D4: BEFE0114
	buffer_store_dword v129, v6, s[8:11], 0 offen              // 0000000052D8: E0701000 80028106
	buffer_store_dword v131, v6, s[8:11], 0 offen offset:128   // 0000000052E0: E0701080 80028306
	s_mov_b64 exec, s[16:17]                                   // 0000000052E8: BEFE0110
	v_mov_b32_e32 v6, v98                                      // 0000000052EC: 7E0C0362
	s_mov_b64 s[52:53], 0                                      // 0000000052F0: BEB40180
	v_readlane_b32 s72, v3, 4                                  // 0000000052F4: D2890048 00010903
	s_cmp_lt_u32 s72, s62                                      // 0000000052FC: BF0A3E48
	s_cselect_b32 s20, s16, s52                                // 000000005300: 85143410
	v_readlane_b32 s72, v3, 5                                  // 000000005304: D2890048 00010B03
	s_cmp_lt_u32 s72, s62                                      // 00000000530C: BF0A3E48
	s_cselect_b32 s21, s16, s52                                // 000000005310: 85153410
	s_mov_b64 exec, s[20:21]                                   // 000000005314: BEFE0114
	buffer_store_dword v132, v6, s[8:11], 0 offen              // 000000005318: E0701000 80028406
	buffer_store_dword v134, v6, s[8:11], 0 offen offset:128   // 000000005320: E0701080 80028606
	s_mov_b64 exec, s[16:17]                                   // 000000005328: BEFE0110
	v_mov_b32_e32 v6, v99                                      // 00000000532C: 7E0C0363
	s_mov_b64 s[52:53], 0                                      // 000000005330: BEB40180
	v_readlane_b32 s72, v3, 6                                  // 000000005334: D2890048 00010D03
	s_cmp_lt_u32 s72, s62                                      // 00000000533C: BF0A3E48
	s_cselect_b32 s20, s16, s52                                // 000000005340: 85143410
	v_readlane_b32 s72, v3, 7                                  // 000000005344: D2890048 00010F03
	s_cmp_lt_u32 s72, s62                                      // 00000000534C: BF0A3E48
	s_cselect_b32 s21, s16, s52                                // 000000005350: 85153410
	s_mov_b64 exec, s[20:21]                                   // 000000005354: BEFE0114
	buffer_store_dword v133, v6, s[8:11], 0 offen              // 000000005358: E0701000 80028506
	buffer_store_dword v135, v6, s[8:11], 0 offen offset:128   // 000000005360: E0701080 80028706
	s_mov_b64 exec, s[16:17]                                   // 000000005368: BEFE0110
	v_mov_b32_e32 v6, v100                                     // 00000000536C: 7E0C0364
	s_mov_b64 s[52:53], 0                                      // 000000005370: BEB40180
	v_readlane_b32 s72, v3, 8                                  // 000000005374: D2890048 00011103
	s_cmp_lt_u32 s72, s62                                      // 00000000537C: BF0A3E48
	s_cselect_b32 s20, s16, s52                                // 000000005380: 85143410
	v_readlane_b32 s72, v3, 9                                  // 000000005384: D2890048 00011303
	s_cmp_lt_u32 s72, s62                                      // 00000000538C: BF0A3E48
	s_cselect_b32 s21, s16, s52                                // 000000005390: 85153410
	s_mov_b64 exec, s[20:21]                                   // 000000005394: BEFE0114
	buffer_store_dword v136, v6, s[8:11], 0 offen              // 000000005398: E0701000 80028806
	buffer_store_dword v138, v6, s[8:11], 0 offen offset:128   // 0000000053A0: E0701080 80028A06
	s_mov_b64 exec, s[16:17]                                   // 0000000053A8: BEFE0110
	v_mov_b32_e32 v6, v101                                     // 0000000053AC: 7E0C0365
	s_mov_b64 s[52:53], 0                                      // 0000000053B0: BEB40180
	v_readlane_b32 s72, v3, 10                                 // 0000000053B4: D2890048 00011503
	s_cmp_lt_u32 s72, s62                                      // 0000000053BC: BF0A3E48
	s_cselect_b32 s20, s16, s52                                // 0000000053C0: 85143410
	v_readlane_b32 s72, v3, 11                                 // 0000000053C4: D2890048 00011703
	s_cmp_lt_u32 s72, s62                                      // 0000000053CC: BF0A3E48
	s_cselect_b32 s21, s16, s52                                // 0000000053D0: 85153410
	s_mov_b64 exec, s[20:21]                                   // 0000000053D4: BEFE0114
	buffer_store_dword v137, v6, s[8:11], 0 offen              // 0000000053D8: E0701000 80028906
	buffer_store_dword v139, v6, s[8:11], 0 offen offset:128   // 0000000053E0: E0701080 80028B06
	s_mov_b64 exec, s[16:17]                                   // 0000000053E8: BEFE0110
	v_mov_b32_e32 v6, v102                                     // 0000000053EC: 7E0C0366
	s_mov_b64 s[52:53], 0                                      // 0000000053F0: BEB40180
	v_readlane_b32 s72, v3, 12                                 // 0000000053F4: D2890048 00011903
	s_cmp_lt_u32 s72, s62                                      // 0000000053FC: BF0A3E48
	s_cselect_b32 s20, s16, s52                                // 000000005400: 85143410
	v_readlane_b32 s72, v3, 13                                 // 000000005404: D2890048 00011B03
	s_cmp_lt_u32 s72, s62                                      // 00000000540C: BF0A3E48
	s_cselect_b32 s21, s16, s52                                // 000000005410: 85153410
	s_mov_b64 exec, s[20:21]                                   // 000000005414: BEFE0114
	buffer_store_dword v140, v6, s[8:11], 0 offen              // 000000005418: E0701000 80028C06
	buffer_store_dword v142, v6, s[8:11], 0 offen offset:128   // 000000005420: E0701080 80028E06
	s_mov_b64 exec, s[16:17]                                   // 000000005428: BEFE0110
	v_mov_b32_e32 v6, v103                                     // 00000000542C: 7E0C0367
	s_mov_b64 s[52:53], 0                                      // 000000005430: BEB40180
	v_readlane_b32 s72, v3, 14                                 // 000000005434: D2890048 00011D03
	s_cmp_lt_u32 s72, s62                                      // 00000000543C: BF0A3E48
	s_cselect_b32 s20, s16, s52                                // 000000005440: 85143410
	v_readlane_b32 s72, v3, 15                                 // 000000005444: D2890048 00011F03
	s_cmp_lt_u32 s72, s62                                      // 00000000544C: BF0A3E48
	s_cselect_b32 s21, s16, s52                                // 000000005450: 85153410
	s_mov_b64 exec, s[20:21]                                   // 000000005454: BEFE0114
	buffer_store_dword v141, v6, s[8:11], 0 offen              // 000000005458: E0701000 80028D06
	buffer_store_dword v143, v6, s[8:11], 0 offen offset:128   // 000000005460: E0701080 80028F06
	s_mov_b64 exec, s[16:17]                                   // 000000005468: BEFE0110
	v_mov_b32_e32 v6, v104                                     // 00000000546C: 7E0C0368
	s_mov_b64 s[52:53], 0                                      // 000000005470: BEB40180
	v_readlane_b32 s72, v3, 16                                 // 000000005474: D2890048 00012103
	s_cmp_lt_u32 s72, s62                                      // 00000000547C: BF0A3E48
	s_cselect_b32 s20, s16, s52                                // 000000005480: 85143410
	v_readlane_b32 s72, v3, 17                                 // 000000005484: D2890048 00012303
	s_cmp_lt_u32 s72, s62                                      // 00000000548C: BF0A3E48
	s_cselect_b32 s21, s16, s52                                // 000000005490: 85153410
	s_mov_b64 exec, s[20:21]                                   // 000000005494: BEFE0114
	buffer_store_dword v144, v6, s[8:11], 0 offen              // 000000005498: E0701000 80029006
	buffer_store_dword v146, v6, s[8:11], 0 offen offset:128   // 0000000054A0: E0701080 80029206
	s_mov_b64 exec, s[16:17]                                   // 0000000054A8: BEFE0110
	v_mov_b32_e32 v6, v105                                     // 0000000054AC: 7E0C0369
	s_mov_b64 s[52:53], 0                                      // 0000000054B0: BEB40180
	v_readlane_b32 s72, v3, 18                                 // 0000000054B4: D2890048 00012503
	s_cmp_lt_u32 s72, s62                                      // 0000000054BC: BF0A3E48
	s_cselect_b32 s20, s16, s52                                // 0000000054C0: 85143410
	v_readlane_b32 s72, v3, 19                                 // 0000000054C4: D2890048 00012703
	s_cmp_lt_u32 s72, s62                                      // 0000000054CC: BF0A3E48
	s_cselect_b32 s21, s16, s52                                // 0000000054D0: 85153410
	s_mov_b64 exec, s[20:21]                                   // 0000000054D4: BEFE0114
	buffer_store_dword v145, v6, s[8:11], 0 offen              // 0000000054D8: E0701000 80029106
	buffer_store_dword v147, v6, s[8:11], 0 offen offset:128   // 0000000054E0: E0701080 80029306
	s_mov_b64 exec, s[16:17]                                   // 0000000054E8: BEFE0110
	v_mov_b32_e32 v6, v106                                     // 0000000054EC: 7E0C036A
	s_mov_b64 s[52:53], 0                                      // 0000000054F0: BEB40180
	v_readlane_b32 s72, v3, 20                                 // 0000000054F4: D2890048 00012903
	s_cmp_lt_u32 s72, s62                                      // 0000000054FC: BF0A3E48
	s_cselect_b32 s20, s16, s52                                // 000000005500: 85143410
	v_readlane_b32 s72, v3, 21                                 // 000000005504: D2890048 00012B03
	s_cmp_lt_u32 s72, s62                                      // 00000000550C: BF0A3E48
	s_cselect_b32 s21, s16, s52                                // 000000005510: 85153410
	s_mov_b64 exec, s[20:21]                                   // 000000005514: BEFE0114
	buffer_store_dword v148, v6, s[8:11], 0 offen              // 000000005518: E0701000 80029406
	buffer_store_dword v150, v6, s[8:11], 0 offen offset:128   // 000000005520: E0701080 80029606
	s_mov_b64 exec, s[16:17]                                   // 000000005528: BEFE0110
	v_mov_b32_e32 v6, v107                                     // 00000000552C: 7E0C036B
	s_mov_b64 s[52:53], 0                                      // 000000005530: BEB40180
	v_readlane_b32 s72, v3, 22                                 // 000000005534: D2890048 00012D03
	s_cmp_lt_u32 s72, s62                                      // 00000000553C: BF0A3E48
	s_cselect_b32 s20, s16, s52                                // 000000005540: 85143410
	v_readlane_b32 s72, v3, 23                                 // 000000005544: D2890048 00012F03
	s_cmp_lt_u32 s72, s62                                      // 00000000554C: BF0A3E48
	s_cselect_b32 s21, s16, s52                                // 000000005550: 85153410
	s_mov_b64 exec, s[20:21]                                   // 000000005554: BEFE0114
	buffer_store_dword v149, v6, s[8:11], 0 offen              // 000000005558: E0701000 80029506
	buffer_store_dword v151, v6, s[8:11], 0 offen offset:128   // 000000005560: E0701080 80029706
	s_mov_b64 exec, s[16:17]                                   // 000000005568: BEFE0110
	v_mov_b32_e32 v6, v108                                     // 00000000556C: 7E0C036C
	s_mov_b64 s[52:53], 0                                      // 000000005570: BEB40180
	v_readlane_b32 s72, v3, 24                                 // 000000005574: D2890048 00013103
	s_cmp_lt_u32 s72, s62                                      // 00000000557C: BF0A3E48
	s_cselect_b32 s20, s16, s52                                // 000000005580: 85143410
	v_readlane_b32 s72, v3, 25                                 // 000000005584: D2890048 00013303
	s_cmp_lt_u32 s72, s62                                      // 00000000558C: BF0A3E48
	s_cselect_b32 s21, s16, s52                                // 000000005590: 85153410
	s_mov_b64 exec, s[20:21]                                   // 000000005594: BEFE0114
	buffer_store_dword v152, v6, s[8:11], 0 offen              // 000000005598: E0701000 80029806
	buffer_store_dword v154, v6, s[8:11], 0 offen offset:128   // 0000000055A0: E0701080 80029A06
	s_mov_b64 exec, s[16:17]                                   // 0000000055A8: BEFE0110
	v_mov_b32_e32 v6, v109                                     // 0000000055AC: 7E0C036D
	s_mov_b64 s[52:53], 0                                      // 0000000055B0: BEB40180
	v_readlane_b32 s72, v3, 26                                 // 0000000055B4: D2890048 00013503
	s_cmp_lt_u32 s72, s62                                      // 0000000055BC: BF0A3E48
	s_cselect_b32 s20, s16, s52                                // 0000000055C0: 85143410
	v_readlane_b32 s72, v3, 27                                 // 0000000055C4: D2890048 00013703
	s_cmp_lt_u32 s72, s62                                      // 0000000055CC: BF0A3E48
	s_cselect_b32 s21, s16, s52                                // 0000000055D0: 85153410
	s_mov_b64 exec, s[20:21]                                   // 0000000055D4: BEFE0114
	buffer_store_dword v153, v6, s[8:11], 0 offen              // 0000000055D8: E0701000 80029906
	buffer_store_dword v155, v6, s[8:11], 0 offen offset:128   // 0000000055E0: E0701080 80029B06
	s_mov_b64 exec, s[16:17]                                   // 0000000055E8: BEFE0110
	v_mov_b32_e32 v6, v110                                     // 0000000055EC: 7E0C036E
	s_mov_b64 s[52:53], 0                                      // 0000000055F0: BEB40180
	v_readlane_b32 s72, v3, 28                                 // 0000000055F4: D2890048 00013903
	s_cmp_lt_u32 s72, s62                                      // 0000000055FC: BF0A3E48
	s_cselect_b32 s20, s16, s52                                // 000000005600: 85143410
	v_readlane_b32 s72, v3, 29                                 // 000000005604: D2890048 00013B03
	s_cmp_lt_u32 s72, s62                                      // 00000000560C: BF0A3E48
	s_cselect_b32 s21, s16, s52                                // 000000005610: 85153410
	s_mov_b64 exec, s[20:21]                                   // 000000005614: BEFE0114
	buffer_store_dword v156, v6, s[8:11], 0 offen              // 000000005618: E0701000 80029C06
	buffer_store_dword v158, v6, s[8:11], 0 offen offset:128   // 000000005620: E0701080 80029E06
	s_mov_b64 exec, s[16:17]                                   // 000000005628: BEFE0110
	v_mov_b32_e32 v6, v111                                     // 00000000562C: 7E0C036F
	s_mov_b64 s[52:53], 0                                      // 000000005630: BEB40180
	v_readlane_b32 s72, v3, 30                                 // 000000005634: D2890048 00013D03
	s_cmp_lt_u32 s72, s62                                      // 00000000563C: BF0A3E48
	s_cselect_b32 s20, s16, s52                                // 000000005640: 85143410
	v_readlane_b32 s72, v3, 31                                 // 000000005644: D2890048 00013F03
	s_cmp_lt_u32 s72, s62                                      // 00000000564C: BF0A3E48
	s_cselect_b32 s21, s16, s52                                // 000000005650: 85153410
	s_mov_b64 exec, s[20:21]                                   // 000000005654: BEFE0114
	buffer_store_dword v157, v6, s[8:11], 0 offen              // 000000005658: E0701000 80029D06
	buffer_store_dword v159, v6, s[8:11], 0 offen offset:128   // 000000005660: E0701080 80029F06
	s_mov_b64 exec, s[16:17]                                   // 000000005668: BEFE0110
	s_branch label_2072                                        // 00000000566C: BF821513

0000000000005670 <label_0B5C>:
	ds_write_b64 v16, v[64:65]                                 // 000000005670: D89A0000 00004010
	ds_write_b64 v16, v[68:69] offset:4352                     // 000000005678: D89A1100 00004410
	ds_write_b64 v16, v[72:73] offset:8704                     // 000000005680: D89A2200 00004810
	ds_write_b64 v16, v[76:77] offset:13056                    // 000000005688: D89A3300 00004C10
	ds_write_b64 v16, v[80:81] offset:17408                    // 000000005690: D89A4400 00005010
	ds_write_b64 v16, v[84:85] offset:21760                    // 000000005698: D89A5500 00005410
	ds_write_b64 v16, v[88:89] offset:26112                    // 0000000056A0: D89A6600 00005810
	ds_write_b64 v16, v[92:93] offset:30464                    // 0000000056A8: D89A7700 00005C10
	ds_write_b64 v16, v[96:97] offset:2176                     // 0000000056B0: D89A0880 00006010
	ds_write_b64 v16, v[100:101] offset:6528                   // 0000000056B8: D89A1980 00006410
	ds_write_b64 v16, v[104:105] offset:10880                  // 0000000056C0: D89A2A80 00006810
	ds_write_b64 v16, v[108:109] offset:15232                  // 0000000056C8: D89A3B80 00006C10
	ds_write_b64 v16, v[112:113] offset:19584                  // 0000000056D0: D89A4C80 00007010
	ds_write_b64 v16, v[116:117] offset:23936                  // 0000000056D8: D89A5D80 00007410
	ds_write_b64 v16, v[120:121] offset:28288                  // 0000000056E0: D89A6E80 00007810
	ds_write_b64 v16, v[124:125] offset:32640                  // 0000000056E8: D89A7F80 00007C10
	v_lshrrev_b32_e32 v4, 5, v0                                // 0000000056F0: 20080085
	v_xor_b32_e32 v5, 1, v4                                    // 0000000056F4: 2A0A0881
	s_mul_i32 s52, s61, 2                                      // 0000000056F8: 9234823D
	s_cmp_eq_u32 s74, 0                                        // 0000000056FC: BF06804A
	s_cselect_b32 s53, 1, 4                                    // 000000005700: 85358481
	s_mul_i32 s52, s53, s52                                    // 000000005704: 92343435
	v_readlane_b32 s72, v3, 0                                  // 000000005708: D2890048 00010103
	s_mul_i32 s72, s72, s66                                    // 000000005710: 92484248
	v_mul_lo_u32 v6, v5, s72                                   // 000000005714: D2850006 00009105
	v_readlane_b32 s72, v3, 1                                  // 00000000571C: D2890048 00010303
	s_mul_i32 s72, s72, s66                                    // 000000005724: 92484248
	v_mul_lo_u32 v7, v4, s72                                   // 000000005728: D2850007 00009104
	v_add_u32_e32 v96, v6, v7                                  // 000000005730: 68C00F06
	v_readlane_b32 s72, v3, 2                                  // 000000005734: D2890048 00010503
	s_mul_i32 s72, s72, s66                                    // 00000000573C: 92484248
	v_mul_lo_u32 v6, v5, s72                                   // 000000005740: D2850006 00009105
	v_readlane_b32 s72, v3, 3                                  // 000000005748: D2890048 00010703
	s_mul_i32 s72, s72, s66                                    // 000000005750: 92484248
	v_mul_lo_u32 v7, v4, s72                                   // 000000005754: D2850007 00009104
	v_add_u32_e32 v97, v6, v7                                  // 00000000575C: 68C20F06
	v_readlane_b32 s72, v3, 4                                  // 000000005760: D2890048 00010903
	s_mul_i32 s72, s72, s66                                    // 000000005768: 92484248
	v_mul_lo_u32 v6, v5, s72                                   // 00000000576C: D2850006 00009105
	v_readlane_b32 s72, v3, 5                                  // 000000005774: D2890048 00010B03
	s_mul_i32 s72, s72, s66                                    // 00000000577C: 92484248
	v_mul_lo_u32 v7, v4, s72                                   // 000000005780: D2850007 00009104
	v_add_u32_e32 v98, v6, v7                                  // 000000005788: 68C40F06
	v_readlane_b32 s72, v3, 6                                  // 00000000578C: D2890048 00010D03
	s_mul_i32 s72, s72, s66                                    // 000000005794: 92484248
	v_mul_lo_u32 v6, v5, s72                                   // 000000005798: D2850006 00009105
	v_readlane_b32 s72, v3, 7                                  // 0000000057A0: D2890048 00010F03
	s_mul_i32 s72, s72, s66                                    // 0000000057A8: 92484248
	v_mul_lo_u32 v7, v4, s72                                   // 0000000057AC: D2850007 00009104
	v_add_u32_e32 v99, v6, v7                                  // 0000000057B4: 68C60F06
	v_readlane_b32 s72, v3, 8                                  // 0000000057B8: D2890048 00011103
	s_mul_i32 s72, s72, s66                                    // 0000000057C0: 92484248
	v_mul_lo_u32 v6, v5, s72                                   // 0000000057C4: D2850006 00009105
	v_readlane_b32 s72, v3, 9                                  // 0000000057CC: D2890048 00011303
	s_mul_i32 s72, s72, s66                                    // 0000000057D4: 92484248
	v_mul_lo_u32 v7, v4, s72                                   // 0000000057D8: D2850007 00009104
	v_add_u32_e32 v100, v6, v7                                 // 0000000057E0: 68C80F06
	v_readlane_b32 s72, v3, 10                                 // 0000000057E4: D2890048 00011503
	s_mul_i32 s72, s72, s66                                    // 0000000057EC: 92484248
	v_mul_lo_u32 v6, v5, s72                                   // 0000000057F0: D2850006 00009105
	v_readlane_b32 s72, v3, 11                                 // 0000000057F8: D2890048 00011703
	s_mul_i32 s72, s72, s66                                    // 000000005800: 92484248
	v_mul_lo_u32 v7, v4, s72                                   // 000000005804: D2850007 00009104
	v_add_u32_e32 v101, v6, v7                                 // 00000000580C: 68CA0F06
	v_readlane_b32 s72, v3, 12                                 // 000000005810: D2890048 00011903
	s_mul_i32 s72, s72, s66                                    // 000000005818: 92484248
	v_mul_lo_u32 v6, v5, s72                                   // 00000000581C: D2850006 00009105
	v_readlane_b32 s72, v3, 13                                 // 000000005824: D2890048 00011B03
	s_mul_i32 s72, s72, s66                                    // 00000000582C: 92484248
	v_mul_lo_u32 v7, v4, s72                                   // 000000005830: D2850007 00009104
	v_add_u32_e32 v102, v6, v7                                 // 000000005838: 68CC0F06
	v_readlane_b32 s72, v3, 14                                 // 00000000583C: D2890048 00011D03
	s_mul_i32 s72, s72, s66                                    // 000000005844: 92484248
	v_mul_lo_u32 v6, v5, s72                                   // 000000005848: D2850006 00009105
	v_readlane_b32 s72, v3, 15                                 // 000000005850: D2890048 00011F03
	s_mul_i32 s72, s72, s66                                    // 000000005858: 92484248
	v_mul_lo_u32 v7, v4, s72                                   // 00000000585C: D2850007 00009104
	v_add_u32_e32 v103, v6, v7                                 // 000000005864: 68CE0F06
	v_readlane_b32 s72, v3, 16                                 // 000000005868: D2890048 00012103
	s_mul_i32 s72, s72, s66                                    // 000000005870: 92484248
	v_mul_lo_u32 v6, v5, s72                                   // 000000005874: D2850006 00009105
	v_readlane_b32 s72, v3, 17                                 // 00000000587C: D2890048 00012303
	s_mul_i32 s72, s72, s66                                    // 000000005884: 92484248
	v_mul_lo_u32 v7, v4, s72                                   // 000000005888: D2850007 00009104
	v_add_u32_e32 v104, v6, v7                                 // 000000005890: 68D00F06
	v_readlane_b32 s72, v3, 18                                 // 000000005894: D2890048 00012503
	s_mul_i32 s72, s72, s66                                    // 00000000589C: 92484248
	v_mul_lo_u32 v6, v5, s72                                   // 0000000058A0: D2850006 00009105
	v_readlane_b32 s72, v3, 19                                 // 0000000058A8: D2890048 00012703
	s_mul_i32 s72, s72, s66                                    // 0000000058B0: 92484248
	v_mul_lo_u32 v7, v4, s72                                   // 0000000058B4: D2850007 00009104
	v_add_u32_e32 v105, v6, v7                                 // 0000000058BC: 68D20F06
	v_readlane_b32 s72, v3, 20                                 // 0000000058C0: D2890048 00012903
	s_mul_i32 s72, s72, s66                                    // 0000000058C8: 92484248
	v_mul_lo_u32 v6, v5, s72                                   // 0000000058CC: D2850006 00009105
	v_readlane_b32 s72, v3, 21                                 // 0000000058D4: D2890048 00012B03
	s_mul_i32 s72, s72, s66                                    // 0000000058DC: 92484248
	v_mul_lo_u32 v7, v4, s72                                   // 0000000058E0: D2850007 00009104
	v_add_u32_e32 v106, v6, v7                                 // 0000000058E8: 68D40F06
	v_readlane_b32 s72, v3, 22                                 // 0000000058EC: D2890048 00012D03
	s_mul_i32 s72, s72, s66                                    // 0000000058F4: 92484248
	v_mul_lo_u32 v6, v5, s72                                   // 0000000058F8: D2850006 00009105
	v_readlane_b32 s72, v3, 23                                 // 000000005900: D2890048 00012F03
	s_mul_i32 s72, s72, s66                                    // 000000005908: 92484248
	v_mul_lo_u32 v7, v4, s72                                   // 00000000590C: D2850007 00009104
	v_add_u32_e32 v107, v6, v7                                 // 000000005914: 68D60F06
	v_readlane_b32 s72, v3, 24                                 // 000000005918: D2890048 00013103
	s_mul_i32 s72, s72, s66                                    // 000000005920: 92484248
	v_mul_lo_u32 v6, v5, s72                                   // 000000005924: D2850006 00009105
	v_readlane_b32 s72, v3, 25                                 // 00000000592C: D2890048 00013303
	s_mul_i32 s72, s72, s66                                    // 000000005934: 92484248
	v_mul_lo_u32 v7, v4, s72                                   // 000000005938: D2850007 00009104
	v_add_u32_e32 v108, v6, v7                                 // 000000005940: 68D80F06
	v_readlane_b32 s72, v3, 26                                 // 000000005944: D2890048 00013503
	s_mul_i32 s72, s72, s66                                    // 00000000594C: 92484248
	v_mul_lo_u32 v6, v5, s72                                   // 000000005950: D2850006 00009105
	v_readlane_b32 s72, v3, 27                                 // 000000005958: D2890048 00013703
	s_mul_i32 s72, s72, s66                                    // 000000005960: 92484248
	v_mul_lo_u32 v7, v4, s72                                   // 000000005964: D2850007 00009104
	v_add_u32_e32 v109, v6, v7                                 // 00000000596C: 68DA0F06
	v_readlane_b32 s72, v3, 28                                 // 000000005970: D2890048 00013903
	s_mul_i32 s72, s72, s66                                    // 000000005978: 92484248
	v_mul_lo_u32 v6, v5, s72                                   // 00000000597C: D2850006 00009105
	v_readlane_b32 s72, v3, 29                                 // 000000005984: D2890048 00013B03
	s_mul_i32 s72, s72, s66                                    // 00000000598C: 92484248
	v_mul_lo_u32 v7, v4, s72                                   // 000000005990: D2850007 00009104
	v_add_u32_e32 v110, v6, v7                                 // 000000005998: 68DC0F06
	v_readlane_b32 s72, v3, 30                                 // 00000000599C: D2890048 00013D03
	s_mul_i32 s72, s72, s66                                    // 0000000059A4: 92484248
	v_mul_lo_u32 v6, v5, s72                                   // 0000000059A8: D2850006 00009105
	v_readlane_b32 s72, v3, 31                                 // 0000000059B0: D2890048 00013F03
	s_mul_i32 s72, s72, s66                                    // 0000000059B8: 92484248
	v_mul_lo_u32 v7, v4, s72                                   // 0000000059BC: D2850007 00009104
	v_add_u32_e32 v111, v6, v7                                 // 0000000059C4: 68DE0F06
	v_and_b32_e32 v4, 31, v0                                   // 0000000059C8: 2608009F
	v_lshrrev_b32_e32 v4, 1, v4                                // 0000000059CC: 20080881
	s_cmp_eq_u32 s74, 0                                        // 0000000059D0: BF06804A
	s_cselect_b32 s53, 2, 4                                    // 0000000059D4: 85358482
	v_mul_lo_u32 v4, v4, s53                                   // 0000000059D8: D2850004 00006B04
	v_and_b32_e64 v5, v0, 1                                    // 0000000059E0: D1130005 00010300
	v_add_u32_e32 v4, v4, v5                                   // 0000000059E8: 68080B04
	v_lshlrev_b32_e32 v4, 2, v4                                // 0000000059EC: 24080882
	v_add_u32_e32 v96, v96, v4                                 // 0000000059F0: 68C00960
	v_add_u32_e32 v97, v97, v4                                 // 0000000059F4: 68C20961
	v_add_u32_e32 v98, v98, v4                                 // 0000000059F8: 68C40962
	v_add_u32_e32 v99, v99, v4                                 // 0000000059FC: 68C60963
	v_add_u32_e32 v100, v100, v4                               // 000000005A00: 68C80964
	v_add_u32_e32 v101, v101, v4                               // 000000005A04: 68CA0965
	v_add_u32_e32 v102, v102, v4                               // 000000005A08: 68CC0966
	v_add_u32_e32 v103, v103, v4                               // 000000005A0C: 68CE0967
	v_add_u32_e32 v104, v104, v4                               // 000000005A10: 68D00968
	v_add_u32_e32 v105, v105, v4                               // 000000005A14: 68D20969
	v_add_u32_e32 v106, v106, v4                               // 000000005A18: 68D4096A
	v_add_u32_e32 v107, v107, v4                               // 000000005A1C: 68D6096B
	v_add_u32_e32 v108, v108, v4                               // 000000005A20: 68D8096C
	v_add_u32_e32 v109, v109, v4                               // 000000005A24: 68DA096D
	v_add_u32_e32 v110, v110, v4                               // 000000005A28: 68DC096E
	v_add_u32_e32 v111, v111, v4                               // 000000005A2C: 68DE096F
	s_waitcnt lgkmcnt(0)                                       // 000000005A30: BF8CC07F
	s_barrier                                                  // 000000005A34: BF8A0000
	ds_read_b32 v64, v17                                       // 000000005A38: D86C0000 40000011
	ds_read_b32 v65, v17 offset:64                             // 000000005A40: D86C0040 41000011
	ds_read_b32 v68, v17 offset:2176                           // 000000005A48: D86C0880 44000011
	ds_read_b32 v69, v17 offset:2240                           // 000000005A50: D86C08C0 45000011
	ds_read_b32 v72, v17 offset:4352                           // 000000005A58: D86C1100 48000011
	ds_read_b32 v73, v17 offset:4416                           // 000000005A60: D86C1140 49000011
	ds_read_b32 v76, v17 offset:6528                           // 000000005A68: D86C1980 4C000011
	ds_read_b32 v77, v17 offset:6592                           // 000000005A70: D86C19C0 4D000011
	ds_read_b32 v80, v17 offset:8704                           // 000000005A78: D86C2200 50000011
	ds_read_b32 v81, v17 offset:8768                           // 000000005A80: D86C2240 51000011
	ds_read_b32 v84, v17 offset:10880                          // 000000005A88: D86C2A80 54000011
	ds_read_b32 v85, v17 offset:10944                          // 000000005A90: D86C2AC0 55000011
	ds_read_b32 v88, v17 offset:13056                          // 000000005A98: D86C3300 58000011
	ds_read_b32 v89, v17 offset:13120                          // 000000005AA0: D86C3340 59000011
	ds_read_b32 v92, v17 offset:15232                          // 000000005AA8: D86C3B80 5C000011
	ds_read_b32 v93, v17 offset:15296                          // 000000005AB0: D86C3BC0 5D000011
	ds_read_b32 v96, v17 offset:17408                          // 000000005AB8: D86C4400 60000011
	ds_read_b32 v97, v17 offset:17472                          // 000000005AC0: D86C4440 61000011
	ds_read_b32 v100, v17 offset:19584                         // 000000005AC8: D86C4C80 64000011
	ds_read_b32 v101, v17 offset:19648                         // 000000005AD0: D86C4CC0 65000011
	ds_read_b32 v104, v17 offset:21760                         // 000000005AD8: D86C5500 68000011
	ds_read_b32 v105, v17 offset:21824                         // 000000005AE0: D86C5540 69000011
	ds_read_b32 v108, v17 offset:23936                         // 000000005AE8: D86C5D80 6C000011
	ds_read_b32 v109, v17 offset:24000                         // 000000005AF0: D86C5DC0 6D000011
	ds_read_b32 v112, v17 offset:26112                         // 000000005AF8: D86C6600 70000011
	ds_read_b32 v113, v17 offset:26176                         // 000000005B00: D86C6640 71000011
	ds_read_b32 v116, v17 offset:28288                         // 000000005B08: D86C6E80 74000011
	ds_read_b32 v117, v17 offset:28352                         // 000000005B10: D86C6EC0 75000011
	ds_read_b32 v120, v17 offset:30464                         // 000000005B18: D86C7700 78000011
	ds_read_b32 v121, v17 offset:30528                         // 000000005B20: D86C7740 79000011
	ds_read_b32 v124, v17 offset:32640                         // 000000005B28: D86C7F80 7C000011
	ds_read_b32 v125, v17 offset:32704                         // 000000005B30: D86C7FC0 7D000011
	s_waitcnt lgkmcnt(0)                                       // 000000005B38: BF8CC07F
	s_mov_b32 s16, -1                                          // 000000005B3C: BE9000C1
	s_mov_b32 s17, -1                                          // 000000005B40: BE9100C1
	v_mov_b32_e32 v7, 0                                        // 000000005B44: 7E0E0280
	s_mov_b64 exec, s[16:17]                                   // 000000005B48: BEFE0110
	v_mov_b32_e32 v6, v96                                      // 000000005B4C: 7E0C0360
	s_mov_b64 s[52:53], 0                                      // 000000005B50: BEB40180
	v_readlane_b32 s72, v3, 0                                  // 000000005B54: D2890048 00010103
	s_cmp_lt_u32 s72, s62                                      // 000000005B5C: BF0A3E48
	s_cselect_b32 s20, s16, s52                                // 000000005B60: 85143410
	v_readlane_b32 s72, v3, 1                                  // 000000005B64: D2890048 00010303
	s_cmp_lt_u32 s72, s62                                      // 000000005B6C: BF0A3E48
	s_cselect_b32 s21, s16, s52                                // 000000005B70: 85153410
	s_mov_b64 exec, s[20:21]                                   // 000000005B74: BEFE0114
	global_atomic_add_f32 v6, v64, s[8:9]                      // 000000005B78: DD348000 00084006
	global_atomic_add_f32 v6, v68, s[8:9] offset:256           // 000000005B80: DD348100 00084406
	s_mov_b64 exec, s[16:17]                                   // 000000005B88: BEFE0110
	v_mov_b32_e32 v6, v97                                      // 000000005B8C: 7E0C0361
	s_mov_b64 s[52:53], 0                                      // 000000005B90: BEB40180
	v_readlane_b32 s72, v3, 2                                  // 000000005B94: D2890048 00010503
	s_cmp_lt_u32 s72, s62                                      // 000000005B9C: BF0A3E48
	s_cselect_b32 s20, s16, s52                                // 000000005BA0: 85143410
	v_readlane_b32 s72, v3, 3                                  // 000000005BA4: D2890048 00010703
	s_cmp_lt_u32 s72, s62                                      // 000000005BAC: BF0A3E48
	s_cselect_b32 s21, s16, s52                                // 000000005BB0: 85153410
	s_mov_b64 exec, s[20:21]                                   // 000000005BB4: BEFE0114
	global_atomic_add_f32 v6, v65, s[8:9]                      // 000000005BB8: DD348000 00084106
	global_atomic_add_f32 v6, v69, s[8:9] offset:256           // 000000005BC0: DD348100 00084506
	s_mov_b64 exec, s[16:17]                                   // 000000005BC8: BEFE0110
	v_mov_b32_e32 v6, v98                                      // 000000005BCC: 7E0C0362
	s_mov_b64 s[52:53], 0                                      // 000000005BD0: BEB40180
	v_readlane_b32 s72, v3, 4                                  // 000000005BD4: D2890048 00010903
	s_cmp_lt_u32 s72, s62                                      // 000000005BDC: BF0A3E48
	s_cselect_b32 s20, s16, s52                                // 000000005BE0: 85143410
	v_readlane_b32 s72, v3, 5                                  // 000000005BE4: D2890048 00010B03
	s_cmp_lt_u32 s72, s62                                      // 000000005BEC: BF0A3E48
	s_cselect_b32 s21, s16, s52                                // 000000005BF0: 85153410
	s_mov_b64 exec, s[20:21]                                   // 000000005BF4: BEFE0114
	global_atomic_add_f32 v6, v72, s[8:9]                      // 000000005BF8: DD348000 00084806
	global_atomic_add_f32 v6, v76, s[8:9] offset:256           // 000000005C00: DD348100 00084C06
	s_mov_b64 exec, s[16:17]                                   // 000000005C08: BEFE0110
	v_mov_b32_e32 v6, v99                                      // 000000005C0C: 7E0C0363
	s_mov_b64 s[52:53], 0                                      // 000000005C10: BEB40180
	v_readlane_b32 s72, v3, 6                                  // 000000005C14: D2890048 00010D03
	s_cmp_lt_u32 s72, s62                                      // 000000005C1C: BF0A3E48
	s_cselect_b32 s20, s16, s52                                // 000000005C20: 85143410
	v_readlane_b32 s72, v3, 7                                  // 000000005C24: D2890048 00010F03
	s_cmp_lt_u32 s72, s62                                      // 000000005C2C: BF0A3E48
	s_cselect_b32 s21, s16, s52                                // 000000005C30: 85153410
	s_mov_b64 exec, s[20:21]                                   // 000000005C34: BEFE0114
	global_atomic_add_f32 v6, v73, s[8:9]                      // 000000005C38: DD348000 00084906
	global_atomic_add_f32 v6, v77, s[8:9] offset:256           // 000000005C40: DD348100 00084D06
	s_mov_b64 exec, s[16:17]                                   // 000000005C48: BEFE0110
	v_mov_b32_e32 v6, v100                                     // 000000005C4C: 7E0C0364
	s_mov_b64 s[52:53], 0                                      // 000000005C50: BEB40180
	v_readlane_b32 s72, v3, 8                                  // 000000005C54: D2890048 00011103
	s_cmp_lt_u32 s72, s62                                      // 000000005C5C: BF0A3E48
	s_cselect_b32 s20, s16, s52                                // 000000005C60: 85143410
	v_readlane_b32 s72, v3, 9                                  // 000000005C64: D2890048 00011303
	s_cmp_lt_u32 s72, s62                                      // 000000005C6C: BF0A3E48
	s_cselect_b32 s21, s16, s52                                // 000000005C70: 85153410
	s_mov_b64 exec, s[20:21]                                   // 000000005C74: BEFE0114
	global_atomic_add_f32 v6, v80, s[8:9]                      // 000000005C78: DD348000 00085006
	global_atomic_add_f32 v6, v84, s[8:9] offset:256           // 000000005C80: DD348100 00085406
	s_mov_b64 exec, s[16:17]                                   // 000000005C88: BEFE0110
	v_mov_b32_e32 v6, v101                                     // 000000005C8C: 7E0C0365
	s_mov_b64 s[52:53], 0                                      // 000000005C90: BEB40180
	v_readlane_b32 s72, v3, 10                                 // 000000005C94: D2890048 00011503
	s_cmp_lt_u32 s72, s62                                      // 000000005C9C: BF0A3E48
	s_cselect_b32 s20, s16, s52                                // 000000005CA0: 85143410
	v_readlane_b32 s72, v3, 11                                 // 000000005CA4: D2890048 00011703
	s_cmp_lt_u32 s72, s62                                      // 000000005CAC: BF0A3E48
	s_cselect_b32 s21, s16, s52                                // 000000005CB0: 85153410
	s_mov_b64 exec, s[20:21]                                   // 000000005CB4: BEFE0114
	global_atomic_add_f32 v6, v81, s[8:9]                      // 000000005CB8: DD348000 00085106
	global_atomic_add_f32 v6, v85, s[8:9] offset:256           // 000000005CC0: DD348100 00085506
	s_mov_b64 exec, s[16:17]                                   // 000000005CC8: BEFE0110
	v_mov_b32_e32 v6, v102                                     // 000000005CCC: 7E0C0366
	s_mov_b64 s[52:53], 0                                      // 000000005CD0: BEB40180
	v_readlane_b32 s72, v3, 12                                 // 000000005CD4: D2890048 00011903
	s_cmp_lt_u32 s72, s62                                      // 000000005CDC: BF0A3E48
	s_cselect_b32 s20, s16, s52                                // 000000005CE0: 85143410
	v_readlane_b32 s72, v3, 13                                 // 000000005CE4: D2890048 00011B03
	s_cmp_lt_u32 s72, s62                                      // 000000005CEC: BF0A3E48
	s_cselect_b32 s21, s16, s52                                // 000000005CF0: 85153410
	s_mov_b64 exec, s[20:21]                                   // 000000005CF4: BEFE0114
	global_atomic_add_f32 v6, v88, s[8:9]                      // 000000005CF8: DD348000 00085806
	global_atomic_add_f32 v6, v92, s[8:9] offset:256           // 000000005D00: DD348100 00085C06
	s_mov_b64 exec, s[16:17]                                   // 000000005D08: BEFE0110
	v_mov_b32_e32 v6, v103                                     // 000000005D0C: 7E0C0367
	s_mov_b64 s[52:53], 0                                      // 000000005D10: BEB40180
	v_readlane_b32 s72, v3, 14                                 // 000000005D14: D2890048 00011D03
	s_cmp_lt_u32 s72, s62                                      // 000000005D1C: BF0A3E48
	s_cselect_b32 s20, s16, s52                                // 000000005D20: 85143410
	v_readlane_b32 s72, v3, 15                                 // 000000005D24: D2890048 00011F03
	s_cmp_lt_u32 s72, s62                                      // 000000005D2C: BF0A3E48
	s_cselect_b32 s21, s16, s52                                // 000000005D30: 85153410
	s_mov_b64 exec, s[20:21]                                   // 000000005D34: BEFE0114
	global_atomic_add_f32 v6, v89, s[8:9]                      // 000000005D38: DD348000 00085906
	global_atomic_add_f32 v6, v93, s[8:9] offset:256           // 000000005D40: DD348100 00085D06
	s_mov_b64 exec, s[16:17]                                   // 000000005D48: BEFE0110
	v_mov_b32_e32 v6, v104                                     // 000000005D4C: 7E0C0368
	s_mov_b64 s[52:53], 0                                      // 000000005D50: BEB40180
	v_readlane_b32 s72, v3, 16                                 // 000000005D54: D2890048 00012103
	s_cmp_lt_u32 s72, s62                                      // 000000005D5C: BF0A3E48
	s_cselect_b32 s20, s16, s52                                // 000000005D60: 85143410
	v_readlane_b32 s72, v3, 17                                 // 000000005D64: D2890048 00012303
	s_cmp_lt_u32 s72, s62                                      // 000000005D6C: BF0A3E48
	s_cselect_b32 s21, s16, s52                                // 000000005D70: 85153410
	s_mov_b64 exec, s[20:21]                                   // 000000005D74: BEFE0114
	global_atomic_add_f32 v6, v96, s[8:9]                      // 000000005D78: DD348000 00086006
	global_atomic_add_f32 v6, v100, s[8:9] offset:256          // 000000005D80: DD348100 00086406
	s_mov_b64 exec, s[16:17]                                   // 000000005D88: BEFE0110
	v_mov_b32_e32 v6, v105                                     // 000000005D8C: 7E0C0369
	s_mov_b64 s[52:53], 0                                      // 000000005D90: BEB40180
	v_readlane_b32 s72, v3, 18                                 // 000000005D94: D2890048 00012503
	s_cmp_lt_u32 s72, s62                                      // 000000005D9C: BF0A3E48
	s_cselect_b32 s20, s16, s52                                // 000000005DA0: 85143410
	v_readlane_b32 s72, v3, 19                                 // 000000005DA4: D2890048 00012703
	s_cmp_lt_u32 s72, s62                                      // 000000005DAC: BF0A3E48
	s_cselect_b32 s21, s16, s52                                // 000000005DB0: 85153410
	s_mov_b64 exec, s[20:21]                                   // 000000005DB4: BEFE0114
	global_atomic_add_f32 v6, v97, s[8:9]                      // 000000005DB8: DD348000 00086106
	global_atomic_add_f32 v6, v101, s[8:9] offset:256          // 000000005DC0: DD348100 00086506
	s_mov_b64 exec, s[16:17]                                   // 000000005DC8: BEFE0110
	v_mov_b32_e32 v6, v106                                     // 000000005DCC: 7E0C036A
	s_mov_b64 s[52:53], 0                                      // 000000005DD0: BEB40180
	v_readlane_b32 s72, v3, 20                                 // 000000005DD4: D2890048 00012903
	s_cmp_lt_u32 s72, s62                                      // 000000005DDC: BF0A3E48
	s_cselect_b32 s20, s16, s52                                // 000000005DE0: 85143410
	v_readlane_b32 s72, v3, 21                                 // 000000005DE4: D2890048 00012B03
	s_cmp_lt_u32 s72, s62                                      // 000000005DEC: BF0A3E48
	s_cselect_b32 s21, s16, s52                                // 000000005DF0: 85153410
	s_mov_b64 exec, s[20:21]                                   // 000000005DF4: BEFE0114
	global_atomic_add_f32 v6, v104, s[8:9]                     // 000000005DF8: DD348000 00086806
	global_atomic_add_f32 v6, v108, s[8:9] offset:256          // 000000005E00: DD348100 00086C06
	s_mov_b64 exec, s[16:17]                                   // 000000005E08: BEFE0110
	v_mov_b32_e32 v6, v107                                     // 000000005E0C: 7E0C036B
	s_mov_b64 s[52:53], 0                                      // 000000005E10: BEB40180
	v_readlane_b32 s72, v3, 22                                 // 000000005E14: D2890048 00012D03
	s_cmp_lt_u32 s72, s62                                      // 000000005E1C: BF0A3E48
	s_cselect_b32 s20, s16, s52                                // 000000005E20: 85143410
	v_readlane_b32 s72, v3, 23                                 // 000000005E24: D2890048 00012F03
	s_cmp_lt_u32 s72, s62                                      // 000000005E2C: BF0A3E48
	s_cselect_b32 s21, s16, s52                                // 000000005E30: 85153410
	s_mov_b64 exec, s[20:21]                                   // 000000005E34: BEFE0114
	global_atomic_add_f32 v6, v105, s[8:9]                     // 000000005E38: DD348000 00086906
	global_atomic_add_f32 v6, v109, s[8:9] offset:256          // 000000005E40: DD348100 00086D06
	s_mov_b64 exec, s[16:17]                                   // 000000005E48: BEFE0110
	v_mov_b32_e32 v6, v108                                     // 000000005E4C: 7E0C036C
	s_mov_b64 s[52:53], 0                                      // 000000005E50: BEB40180
	v_readlane_b32 s72, v3, 24                                 // 000000005E54: D2890048 00013103
	s_cmp_lt_u32 s72, s62                                      // 000000005E5C: BF0A3E48
	s_cselect_b32 s20, s16, s52                                // 000000005E60: 85143410
	v_readlane_b32 s72, v3, 25                                 // 000000005E64: D2890048 00013303
	s_cmp_lt_u32 s72, s62                                      // 000000005E6C: BF0A3E48
	s_cselect_b32 s21, s16, s52                                // 000000005E70: 85153410
	s_mov_b64 exec, s[20:21]                                   // 000000005E74: BEFE0114
	global_atomic_add_f32 v6, v112, s[8:9]                     // 000000005E78: DD348000 00087006
	global_atomic_add_f32 v6, v116, s[8:9] offset:256          // 000000005E80: DD348100 00087406
	s_mov_b64 exec, s[16:17]                                   // 000000005E88: BEFE0110
	v_mov_b32_e32 v6, v109                                     // 000000005E8C: 7E0C036D
	s_mov_b64 s[52:53], 0                                      // 000000005E90: BEB40180
	v_readlane_b32 s72, v3, 26                                 // 000000005E94: D2890048 00013503
	s_cmp_lt_u32 s72, s62                                      // 000000005E9C: BF0A3E48
	s_cselect_b32 s20, s16, s52                                // 000000005EA0: 85143410
	v_readlane_b32 s72, v3, 27                                 // 000000005EA4: D2890048 00013703
	s_cmp_lt_u32 s72, s62                                      // 000000005EAC: BF0A3E48
	s_cselect_b32 s21, s16, s52                                // 000000005EB0: 85153410
	s_mov_b64 exec, s[20:21]                                   // 000000005EB4: BEFE0114
	global_atomic_add_f32 v6, v113, s[8:9]                     // 000000005EB8: DD348000 00087106
	global_atomic_add_f32 v6, v117, s[8:9] offset:256          // 000000005EC0: DD348100 00087506
	s_mov_b64 exec, s[16:17]                                   // 000000005EC8: BEFE0110
	v_mov_b32_e32 v6, v110                                     // 000000005ECC: 7E0C036E
	s_mov_b64 s[52:53], 0                                      // 000000005ED0: BEB40180
	v_readlane_b32 s72, v3, 28                                 // 000000005ED4: D2890048 00013903
	s_cmp_lt_u32 s72, s62                                      // 000000005EDC: BF0A3E48
	s_cselect_b32 s20, s16, s52                                // 000000005EE0: 85143410
	v_readlane_b32 s72, v3, 29                                 // 000000005EE4: D2890048 00013B03
	s_cmp_lt_u32 s72, s62                                      // 000000005EEC: BF0A3E48
	s_cselect_b32 s21, s16, s52                                // 000000005EF0: 85153410
	s_mov_b64 exec, s[20:21]                                   // 000000005EF4: BEFE0114
	global_atomic_add_f32 v6, v120, s[8:9]                     // 000000005EF8: DD348000 00087806
	global_atomic_add_f32 v6, v124, s[8:9] offset:256          // 000000005F00: DD348100 00087C06
	s_mov_b64 exec, s[16:17]                                   // 000000005F08: BEFE0110
	v_mov_b32_e32 v6, v111                                     // 000000005F0C: 7E0C036F
	s_mov_b64 s[52:53], 0                                      // 000000005F10: BEB40180
	v_readlane_b32 s72, v3, 30                                 // 000000005F14: D2890048 00013D03
	s_cmp_lt_u32 s72, s62                                      // 000000005F1C: BF0A3E48
	s_cselect_b32 s20, s16, s52                                // 000000005F20: 85143410
	v_readlane_b32 s72, v3, 31                                 // 000000005F24: D2890048 00013F03
	s_cmp_lt_u32 s72, s62                                      // 000000005F2C: BF0A3E48
	s_cselect_b32 s21, s16, s52                                // 000000005F30: 85153410
	s_mov_b64 exec, s[20:21]                                   // 000000005F34: BEFE0114
	global_atomic_add_f32 v6, v121, s[8:9]                     // 000000005F38: DD348000 00087906
	global_atomic_add_f32 v6, v125, s[8:9] offset:256          // 000000005F40: DD348100 00087D06
	s_mov_b64 exec, s[16:17]                                   // 000000005F48: BEFE0110
	ds_write_b64 v16, v[66:67]                                 // 000000005F4C: D89A0000 00004210
	ds_write_b64 v16, v[70:71] offset:4352                     // 000000005F54: D89A1100 00004610
	ds_write_b64 v16, v[74:75] offset:8704                     // 000000005F5C: D89A2200 00004A10
	ds_write_b64 v16, v[78:79] offset:13056                    // 000000005F64: D89A3300 00004E10
	ds_write_b64 v16, v[82:83] offset:17408                    // 000000005F6C: D89A4400 00005210
	ds_write_b64 v16, v[86:87] offset:21760                    // 000000005F74: D89A5500 00005610
	ds_write_b64 v16, v[90:91] offset:26112                    // 000000005F7C: D89A6600 00005A10
	ds_write_b64 v16, v[94:95] offset:30464                    // 000000005F84: D89A7700 00005E10
	ds_write_b64 v16, v[98:99] offset:2176                     // 000000005F8C: D89A0880 00006210
	ds_write_b64 v16, v[102:103] offset:6528                   // 000000005F94: D89A1980 00006610
	ds_write_b64 v16, v[106:107] offset:10880                  // 000000005F9C: D89A2A80 00006A10
	ds_write_b64 v16, v[110:111] offset:15232                  // 000000005FA4: D89A3B80 00006E10
	ds_write_b64 v16, v[114:115] offset:19584                  // 000000005FAC: D89A4C80 00007210
	ds_write_b64 v16, v[118:119] offset:23936                  // 000000005FB4: D89A5D80 00007610
	ds_write_b64 v16, v[122:123] offset:28288                  // 000000005FBC: D89A6E80 00007A10
	ds_write_b64 v16, v[126:127] offset:32640                  // 000000005FC4: D89A7F80 00007E10
	s_waitcnt lgkmcnt(0)                                       // 000000005FCC: BF8CC07F
	s_barrier                                                  // 000000005FD0: BF8A0000
	ds_read_b32 v66, v17                                       // 000000005FD4: D86C0000 42000011
	ds_read_b32 v67, v17 offset:64                             // 000000005FDC: D86C0040 43000011
	ds_read_b32 v70, v17 offset:2176                           // 000000005FE4: D86C0880 46000011
	ds_read_b32 v71, v17 offset:2240                           // 000000005FEC: D86C08C0 47000011
	ds_read_b32 v74, v17 offset:4352                           // 000000005FF4: D86C1100 4A000011
	ds_read_b32 v75, v17 offset:4416                           // 000000005FFC: D86C1140 4B000011
	ds_read_b32 v78, v17 offset:6528                           // 000000006004: D86C1980 4E000011
	ds_read_b32 v79, v17 offset:6592                           // 00000000600C: D86C19C0 4F000011
	ds_read_b32 v82, v17 offset:8704                           // 000000006014: D86C2200 52000011
	ds_read_b32 v83, v17 offset:8768                           // 00000000601C: D86C2240 53000011
	ds_read_b32 v86, v17 offset:10880                          // 000000006024: D86C2A80 56000011
	ds_read_b32 v87, v17 offset:10944                          // 00000000602C: D86C2AC0 57000011
	ds_read_b32 v90, v17 offset:13056                          // 000000006034: D86C3300 5A000011
	ds_read_b32 v91, v17 offset:13120                          // 00000000603C: D86C3340 5B000011
	ds_read_b32 v94, v17 offset:15232                          // 000000006044: D86C3B80 5E000011
	ds_read_b32 v95, v17 offset:15296                          // 00000000604C: D86C3BC0 5F000011
	ds_read_b32 v98, v17 offset:17408                          // 000000006054: D86C4400 62000011
	ds_read_b32 v99, v17 offset:17472                          // 00000000605C: D86C4440 63000011
	ds_read_b32 v102, v17 offset:19584                         // 000000006064: D86C4C80 66000011
	ds_read_b32 v103, v17 offset:19648                         // 00000000606C: D86C4CC0 67000011
	ds_read_b32 v106, v17 offset:21760                         // 000000006074: D86C5500 6A000011
	ds_read_b32 v107, v17 offset:21824                         // 00000000607C: D86C5540 6B000011
	ds_read_b32 v110, v17 offset:23936                         // 000000006084: D86C5D80 6E000011
	ds_read_b32 v111, v17 offset:24000                         // 00000000608C: D86C5DC0 6F000011
	ds_read_b32 v114, v17 offset:26112                         // 000000006094: D86C6600 72000011
	ds_read_b32 v115, v17 offset:26176                         // 00000000609C: D86C6640 73000011
	ds_read_b32 v118, v17 offset:28288                         // 0000000060A4: D86C6E80 76000011
	ds_read_b32 v119, v17 offset:28352                         // 0000000060AC: D86C6EC0 77000011
	ds_read_b32 v122, v17 offset:30464                         // 0000000060B4: D86C7700 7A000011
	ds_read_b32 v123, v17 offset:30528                         // 0000000060BC: D86C7740 7B000011
	ds_read_b32 v126, v17 offset:32640                         // 0000000060C4: D86C7F80 7E000011
	ds_read_b32 v127, v17 offset:32704                         // 0000000060CC: D86C7FC0 7F000011
	s_waitcnt lgkmcnt(0)                                       // 0000000060D4: BF8CC07F
	v_mov_b32_e32 v7, 0                                        // 0000000060D8: 7E0E0280
	s_mov_b64 exec, s[16:17]                                   // 0000000060DC: BEFE0110
	v_mov_b32_e32 v6, v96                                      // 0000000060E0: 7E0C0360
	s_mov_b64 s[52:53], 0                                      // 0000000060E4: BEB40180
	v_readlane_b32 s72, v3, 0                                  // 0000000060E8: D2890048 00010103
	s_cmp_lt_u32 s72, s62                                      // 0000000060F0: BF0A3E48
	s_cselect_b32 s20, s16, s52                                // 0000000060F4: 85143410
	v_readlane_b32 s72, v3, 1                                  // 0000000060F8: D2890048 00010303
	s_cmp_lt_u32 s72, s62                                      // 000000006100: BF0A3E48
	s_cselect_b32 s21, s16, s52                                // 000000006104: 85153410
	s_mov_b64 exec, s[20:21]                                   // 000000006108: BEFE0114
	global_atomic_add_f32 v6, v66, s[8:9] offset:8             // 00000000610C: DD348008 00084206
	global_atomic_add_f32 v6, v70, s[8:9] offset:264           // 000000006114: DD348108 00084606
	s_mov_b64 exec, s[16:17]                                   // 00000000611C: BEFE0110
	v_mov_b32_e32 v6, v97                                      // 000000006120: 7E0C0361
	s_mov_b64 s[52:53], 0                                      // 000000006124: BEB40180
	v_readlane_b32 s72, v3, 2                                  // 000000006128: D2890048 00010503
	s_cmp_lt_u32 s72, s62                                      // 000000006130: BF0A3E48
	s_cselect_b32 s20, s16, s52                                // 000000006134: 85143410
	v_readlane_b32 s72, v3, 3                                  // 000000006138: D2890048 00010703
	s_cmp_lt_u32 s72, s62                                      // 000000006140: BF0A3E48
	s_cselect_b32 s21, s16, s52                                // 000000006144: 85153410
	s_mov_b64 exec, s[20:21]                                   // 000000006148: BEFE0114
	global_atomic_add_f32 v6, v67, s[8:9] offset:8             // 00000000614C: DD348008 00084306
	global_atomic_add_f32 v6, v71, s[8:9] offset:264           // 000000006154: DD348108 00084706
	s_mov_b64 exec, s[16:17]                                   // 00000000615C: BEFE0110
	v_mov_b32_e32 v6, v98                                      // 000000006160: 7E0C0362
	s_mov_b64 s[52:53], 0                                      // 000000006164: BEB40180
	v_readlane_b32 s72, v3, 4                                  // 000000006168: D2890048 00010903
	s_cmp_lt_u32 s72, s62                                      // 000000006170: BF0A3E48
	s_cselect_b32 s20, s16, s52                                // 000000006174: 85143410
	v_readlane_b32 s72, v3, 5                                  // 000000006178: D2890048 00010B03
	s_cmp_lt_u32 s72, s62                                      // 000000006180: BF0A3E48
	s_cselect_b32 s21, s16, s52                                // 000000006184: 85153410
	s_mov_b64 exec, s[20:21]                                   // 000000006188: BEFE0114
	global_atomic_add_f32 v6, v74, s[8:9] offset:8             // 00000000618C: DD348008 00084A06
	global_atomic_add_f32 v6, v78, s[8:9] offset:264           // 000000006194: DD348108 00084E06
	s_mov_b64 exec, s[16:17]                                   // 00000000619C: BEFE0110
	v_mov_b32_e32 v6, v99                                      // 0000000061A0: 7E0C0363
	s_mov_b64 s[52:53], 0                                      // 0000000061A4: BEB40180
	v_readlane_b32 s72, v3, 6                                  // 0000000061A8: D2890048 00010D03
	s_cmp_lt_u32 s72, s62                                      // 0000000061B0: BF0A3E48
	s_cselect_b32 s20, s16, s52                                // 0000000061B4: 85143410
	v_readlane_b32 s72, v3, 7                                  // 0000000061B8: D2890048 00010F03
	s_cmp_lt_u32 s72, s62                                      // 0000000061C0: BF0A3E48
	s_cselect_b32 s21, s16, s52                                // 0000000061C4: 85153410
	s_mov_b64 exec, s[20:21]                                   // 0000000061C8: BEFE0114
	global_atomic_add_f32 v6, v75, s[8:9] offset:8             // 0000000061CC: DD348008 00084B06
	global_atomic_add_f32 v6, v79, s[8:9] offset:264           // 0000000061D4: DD348108 00084F06
	s_mov_b64 exec, s[16:17]                                   // 0000000061DC: BEFE0110
	v_mov_b32_e32 v6, v100                                     // 0000000061E0: 7E0C0364
	s_mov_b64 s[52:53], 0                                      // 0000000061E4: BEB40180
	v_readlane_b32 s72, v3, 8                                  // 0000000061E8: D2890048 00011103
	s_cmp_lt_u32 s72, s62                                      // 0000000061F0: BF0A3E48
	s_cselect_b32 s20, s16, s52                                // 0000000061F4: 85143410
	v_readlane_b32 s72, v3, 9                                  // 0000000061F8: D2890048 00011303
	s_cmp_lt_u32 s72, s62                                      // 000000006200: BF0A3E48
	s_cselect_b32 s21, s16, s52                                // 000000006204: 85153410
	s_mov_b64 exec, s[20:21]                                   // 000000006208: BEFE0114
	global_atomic_add_f32 v6, v82, s[8:9] offset:8             // 00000000620C: DD348008 00085206
	global_atomic_add_f32 v6, v86, s[8:9] offset:264           // 000000006214: DD348108 00085606
	s_mov_b64 exec, s[16:17]                                   // 00000000621C: BEFE0110
	v_mov_b32_e32 v6, v101                                     // 000000006220: 7E0C0365
	s_mov_b64 s[52:53], 0                                      // 000000006224: BEB40180
	v_readlane_b32 s72, v3, 10                                 // 000000006228: D2890048 00011503
	s_cmp_lt_u32 s72, s62                                      // 000000006230: BF0A3E48
	s_cselect_b32 s20, s16, s52                                // 000000006234: 85143410
	v_readlane_b32 s72, v3, 11                                 // 000000006238: D2890048 00011703
	s_cmp_lt_u32 s72, s62                                      // 000000006240: BF0A3E48
	s_cselect_b32 s21, s16, s52                                // 000000006244: 85153410
	s_mov_b64 exec, s[20:21]                                   // 000000006248: BEFE0114
	global_atomic_add_f32 v6, v83, s[8:9] offset:8             // 00000000624C: DD348008 00085306
	global_atomic_add_f32 v6, v87, s[8:9] offset:264           // 000000006254: DD348108 00085706
	s_mov_b64 exec, s[16:17]                                   // 00000000625C: BEFE0110
	v_mov_b32_e32 v6, v102                                     // 000000006260: 7E0C0366
	s_mov_b64 s[52:53], 0                                      // 000000006264: BEB40180
	v_readlane_b32 s72, v3, 12                                 // 000000006268: D2890048 00011903
	s_cmp_lt_u32 s72, s62                                      // 000000006270: BF0A3E48
	s_cselect_b32 s20, s16, s52                                // 000000006274: 85143410
	v_readlane_b32 s72, v3, 13                                 // 000000006278: D2890048 00011B03
	s_cmp_lt_u32 s72, s62                                      // 000000006280: BF0A3E48
	s_cselect_b32 s21, s16, s52                                // 000000006284: 85153410
	s_mov_b64 exec, s[20:21]                                   // 000000006288: BEFE0114
	global_atomic_add_f32 v6, v90, s[8:9] offset:8             // 00000000628C: DD348008 00085A06
	global_atomic_add_f32 v6, v94, s[8:9] offset:264           // 000000006294: DD348108 00085E06
	s_mov_b64 exec, s[16:17]                                   // 00000000629C: BEFE0110
	v_mov_b32_e32 v6, v103                                     // 0000000062A0: 7E0C0367
	s_mov_b64 s[52:53], 0                                      // 0000000062A4: BEB40180
	v_readlane_b32 s72, v3, 14                                 // 0000000062A8: D2890048 00011D03
	s_cmp_lt_u32 s72, s62                                      // 0000000062B0: BF0A3E48
	s_cselect_b32 s20, s16, s52                                // 0000000062B4: 85143410
	v_readlane_b32 s72, v3, 15                                 // 0000000062B8: D2890048 00011F03
	s_cmp_lt_u32 s72, s62                                      // 0000000062C0: BF0A3E48
	s_cselect_b32 s21, s16, s52                                // 0000000062C4: 85153410
	s_mov_b64 exec, s[20:21]                                   // 0000000062C8: BEFE0114
	global_atomic_add_f32 v6, v91, s[8:9] offset:8             // 0000000062CC: DD348008 00085B06
	global_atomic_add_f32 v6, v95, s[8:9] offset:264           // 0000000062D4: DD348108 00085F06
	s_mov_b64 exec, s[16:17]                                   // 0000000062DC: BEFE0110
	v_mov_b32_e32 v6, v104                                     // 0000000062E0: 7E0C0368
	s_mov_b64 s[52:53], 0                                      // 0000000062E4: BEB40180
	v_readlane_b32 s72, v3, 16                                 // 0000000062E8: D2890048 00012103
	s_cmp_lt_u32 s72, s62                                      // 0000000062F0: BF0A3E48
	s_cselect_b32 s20, s16, s52                                // 0000000062F4: 85143410
	v_readlane_b32 s72, v3, 17                                 // 0000000062F8: D2890048 00012303
	s_cmp_lt_u32 s72, s62                                      // 000000006300: BF0A3E48
	s_cselect_b32 s21, s16, s52                                // 000000006304: 85153410
	s_mov_b64 exec, s[20:21]                                   // 000000006308: BEFE0114
	global_atomic_add_f32 v6, v98, s[8:9] offset:8             // 00000000630C: DD348008 00086206
	global_atomic_add_f32 v6, v102, s[8:9] offset:264          // 000000006314: DD348108 00086606
	s_mov_b64 exec, s[16:17]                                   // 00000000631C: BEFE0110
	v_mov_b32_e32 v6, v105                                     // 000000006320: 7E0C0369
	s_mov_b64 s[52:53], 0                                      // 000000006324: BEB40180
	v_readlane_b32 s72, v3, 18                                 // 000000006328: D2890048 00012503
	s_cmp_lt_u32 s72, s62                                      // 000000006330: BF0A3E48
	s_cselect_b32 s20, s16, s52                                // 000000006334: 85143410
	v_readlane_b32 s72, v3, 19                                 // 000000006338: D2890048 00012703
	s_cmp_lt_u32 s72, s62                                      // 000000006340: BF0A3E48
	s_cselect_b32 s21, s16, s52                                // 000000006344: 85153410
	s_mov_b64 exec, s[20:21]                                   // 000000006348: BEFE0114
	global_atomic_add_f32 v6, v99, s[8:9] offset:8             // 00000000634C: DD348008 00086306
	global_atomic_add_f32 v6, v103, s[8:9] offset:264          // 000000006354: DD348108 00086706
	s_mov_b64 exec, s[16:17]                                   // 00000000635C: BEFE0110
	v_mov_b32_e32 v6, v106                                     // 000000006360: 7E0C036A
	s_mov_b64 s[52:53], 0                                      // 000000006364: BEB40180
	v_readlane_b32 s72, v3, 20                                 // 000000006368: D2890048 00012903
	s_cmp_lt_u32 s72, s62                                      // 000000006370: BF0A3E48
	s_cselect_b32 s20, s16, s52                                // 000000006374: 85143410
	v_readlane_b32 s72, v3, 21                                 // 000000006378: D2890048 00012B03
	s_cmp_lt_u32 s72, s62                                      // 000000006380: BF0A3E48
	s_cselect_b32 s21, s16, s52                                // 000000006384: 85153410
	s_mov_b64 exec, s[20:21]                                   // 000000006388: BEFE0114
	global_atomic_add_f32 v6, v106, s[8:9] offset:8            // 00000000638C: DD348008 00086A06
	global_atomic_add_f32 v6, v110, s[8:9] offset:264          // 000000006394: DD348108 00086E06
	s_mov_b64 exec, s[16:17]                                   // 00000000639C: BEFE0110
	v_mov_b32_e32 v6, v107                                     // 0000000063A0: 7E0C036B
	s_mov_b64 s[52:53], 0                                      // 0000000063A4: BEB40180
	v_readlane_b32 s72, v3, 22                                 // 0000000063A8: D2890048 00012D03
	s_cmp_lt_u32 s72, s62                                      // 0000000063B0: BF0A3E48
	s_cselect_b32 s20, s16, s52                                // 0000000063B4: 85143410
	v_readlane_b32 s72, v3, 23                                 // 0000000063B8: D2890048 00012F03
	s_cmp_lt_u32 s72, s62                                      // 0000000063C0: BF0A3E48
	s_cselect_b32 s21, s16, s52                                // 0000000063C4: 85153410
	s_mov_b64 exec, s[20:21]                                   // 0000000063C8: BEFE0114
	global_atomic_add_f32 v6, v107, s[8:9] offset:8            // 0000000063CC: DD348008 00086B06
	global_atomic_add_f32 v6, v111, s[8:9] offset:264          // 0000000063D4: DD348108 00086F06
	s_mov_b64 exec, s[16:17]                                   // 0000000063DC: BEFE0110
	v_mov_b32_e32 v6, v108                                     // 0000000063E0: 7E0C036C
	s_mov_b64 s[52:53], 0                                      // 0000000063E4: BEB40180
	v_readlane_b32 s72, v3, 24                                 // 0000000063E8: D2890048 00013103
	s_cmp_lt_u32 s72, s62                                      // 0000000063F0: BF0A3E48
	s_cselect_b32 s20, s16, s52                                // 0000000063F4: 85143410
	v_readlane_b32 s72, v3, 25                                 // 0000000063F8: D2890048 00013303
	s_cmp_lt_u32 s72, s62                                      // 000000006400: BF0A3E48
	s_cselect_b32 s21, s16, s52                                // 000000006404: 85153410
	s_mov_b64 exec, s[20:21]                                   // 000000006408: BEFE0114
	global_atomic_add_f32 v6, v114, s[8:9] offset:8            // 00000000640C: DD348008 00087206
	global_atomic_add_f32 v6, v118, s[8:9] offset:264          // 000000006414: DD348108 00087606
	s_mov_b64 exec, s[16:17]                                   // 00000000641C: BEFE0110
	v_mov_b32_e32 v6, v109                                     // 000000006420: 7E0C036D
	s_mov_b64 s[52:53], 0                                      // 000000006424: BEB40180
	v_readlane_b32 s72, v3, 26                                 // 000000006428: D2890048 00013503
	s_cmp_lt_u32 s72, s62                                      // 000000006430: BF0A3E48
	s_cselect_b32 s20, s16, s52                                // 000000006434: 85143410
	v_readlane_b32 s72, v3, 27                                 // 000000006438: D2890048 00013703
	s_cmp_lt_u32 s72, s62                                      // 000000006440: BF0A3E48
	s_cselect_b32 s21, s16, s52                                // 000000006444: 85153410
	s_mov_b64 exec, s[20:21]                                   // 000000006448: BEFE0114
	global_atomic_add_f32 v6, v115, s[8:9] offset:8            // 00000000644C: DD348008 00087306
	global_atomic_add_f32 v6, v119, s[8:9] offset:264          // 000000006454: DD348108 00087706
	s_mov_b64 exec, s[16:17]                                   // 00000000645C: BEFE0110
	v_mov_b32_e32 v6, v110                                     // 000000006460: 7E0C036E
	s_mov_b64 s[52:53], 0                                      // 000000006464: BEB40180
	v_readlane_b32 s72, v3, 28                                 // 000000006468: D2890048 00013903
	s_cmp_lt_u32 s72, s62                                      // 000000006470: BF0A3E48
	s_cselect_b32 s20, s16, s52                                // 000000006474: 85143410
	v_readlane_b32 s72, v3, 29                                 // 000000006478: D2890048 00013B03
	s_cmp_lt_u32 s72, s62                                      // 000000006480: BF0A3E48
	s_cselect_b32 s21, s16, s52                                // 000000006484: 85153410
	s_mov_b64 exec, s[20:21]                                   // 000000006488: BEFE0114
	global_atomic_add_f32 v6, v122, s[8:9] offset:8            // 00000000648C: DD348008 00087A06
	global_atomic_add_f32 v6, v126, s[8:9] offset:264          // 000000006494: DD348108 00087E06
	s_mov_b64 exec, s[16:17]                                   // 00000000649C: BEFE0110
	v_mov_b32_e32 v6, v111                                     // 0000000064A0: 7E0C036F
	s_mov_b64 s[52:53], 0                                      // 0000000064A4: BEB40180
	v_readlane_b32 s72, v3, 30                                 // 0000000064A8: D2890048 00013D03
	s_cmp_lt_u32 s72, s62                                      // 0000000064B0: BF0A3E48
	s_cselect_b32 s20, s16, s52                                // 0000000064B4: 85143410
	v_readlane_b32 s72, v3, 31                                 // 0000000064B8: D2890048 00013F03
	s_cmp_lt_u32 s72, s62                                      // 0000000064C0: BF0A3E48
	s_cselect_b32 s21, s16, s52                                // 0000000064C4: 85153410
	s_mov_b64 exec, s[20:21]                                   // 0000000064C8: BEFE0114
	global_atomic_add_f32 v6, v123, s[8:9] offset:8            // 0000000064CC: DD348008 00087B06
	global_atomic_add_f32 v6, v127, s[8:9] offset:264          // 0000000064D4: DD348108 00087F06
	s_mov_b64 exec, s[16:17]                                   // 0000000064DC: BEFE0110
	ds_write_b64 v16, v[128:129]                               // 0000000064E0: D89A0000 00008010
	ds_write_b64 v16, v[132:133] offset:4352                   // 0000000064E8: D89A1100 00008410
	ds_write_b64 v16, v[136:137] offset:8704                   // 0000000064F0: D89A2200 00008810
	ds_write_b64 v16, v[140:141] offset:13056                  // 0000000064F8: D89A3300 00008C10
	ds_write_b64 v16, v[144:145] offset:17408                  // 000000006500: D89A4400 00009010
	ds_write_b64 v16, v[148:149] offset:21760                  // 000000006508: D89A5500 00009410
	ds_write_b64 v16, v[152:153] offset:26112                  // 000000006510: D89A6600 00009810
	ds_write_b64 v16, v[156:157] offset:30464                  // 000000006518: D89A7700 00009C10
	ds_write_b64 v16, v[160:161] offset:2176                   // 000000006520: D89A0880 0000A010
	ds_write_b64 v16, v[164:165] offset:6528                   // 000000006528: D89A1980 0000A410
	ds_write_b64 v16, v[168:169] offset:10880                  // 000000006530: D89A2A80 0000A810
	ds_write_b64 v16, v[172:173] offset:15232                  // 000000006538: D89A3B80 0000AC10
	ds_write_b64 v16, v[176:177] offset:19584                  // 000000006540: D89A4C80 0000B010
	ds_write_b64 v16, v[180:181] offset:23936                  // 000000006548: D89A5D80 0000B410
	ds_write_b64 v16, v[184:185] offset:28288                  // 000000006550: D89A6E80 0000B810
	ds_write_b64 v16, v[188:189] offset:32640                  // 000000006558: D89A7F80 0000BC10
	s_waitcnt lgkmcnt(0)                                       // 000000006560: BF8CC07F
	s_barrier                                                  // 000000006564: BF8A0000
	ds_read_b32 v128, v17                                      // 000000006568: D86C0000 80000011
	ds_read_b32 v129, v17 offset:64                            // 000000006570: D86C0040 81000011
	ds_read_b32 v132, v17 offset:2176                          // 000000006578: D86C0880 84000011
	ds_read_b32 v133, v17 offset:2240                          // 000000006580: D86C08C0 85000011
	ds_read_b32 v136, v17 offset:4352                          // 000000006588: D86C1100 88000011
	ds_read_b32 v137, v17 offset:4416                          // 000000006590: D86C1140 89000011
	ds_read_b32 v140, v17 offset:6528                          // 000000006598: D86C1980 8C000011
	ds_read_b32 v141, v17 offset:6592                          // 0000000065A0: D86C19C0 8D000011
	ds_read_b32 v144, v17 offset:8704                          // 0000000065A8: D86C2200 90000011
	ds_read_b32 v145, v17 offset:8768                          // 0000000065B0: D86C2240 91000011
	ds_read_b32 v148, v17 offset:10880                         // 0000000065B8: D86C2A80 94000011
	ds_read_b32 v149, v17 offset:10944                         // 0000000065C0: D86C2AC0 95000011
	ds_read_b32 v152, v17 offset:13056                         // 0000000065C8: D86C3300 98000011
	ds_read_b32 v153, v17 offset:13120                         // 0000000065D0: D86C3340 99000011
	ds_read_b32 v156, v17 offset:15232                         // 0000000065D8: D86C3B80 9C000011
	ds_read_b32 v157, v17 offset:15296                         // 0000000065E0: D86C3BC0 9D000011
	ds_read_b32 v160, v17 offset:17408                         // 0000000065E8: D86C4400 A0000011
	ds_read_b32 v161, v17 offset:17472                         // 0000000065F0: D86C4440 A1000011
	ds_read_b32 v164, v17 offset:19584                         // 0000000065F8: D86C4C80 A4000011
	ds_read_b32 v165, v17 offset:19648                         // 000000006600: D86C4CC0 A5000011
	ds_read_b32 v168, v17 offset:21760                         // 000000006608: D86C5500 A8000011
	ds_read_b32 v169, v17 offset:21824                         // 000000006610: D86C5540 A9000011
	ds_read_b32 v172, v17 offset:23936                         // 000000006618: D86C5D80 AC000011
	ds_read_b32 v173, v17 offset:24000                         // 000000006620: D86C5DC0 AD000011
	ds_read_b32 v176, v17 offset:26112                         // 000000006628: D86C6600 B0000011
	ds_read_b32 v177, v17 offset:26176                         // 000000006630: D86C6640 B1000011
	ds_read_b32 v180, v17 offset:28288                         // 000000006638: D86C6E80 B4000011
	ds_read_b32 v181, v17 offset:28352                         // 000000006640: D86C6EC0 B5000011
	ds_read_b32 v184, v17 offset:30464                         // 000000006648: D86C7700 B8000011
	ds_read_b32 v185, v17 offset:30528                         // 000000006650: D86C7740 B9000011
	ds_read_b32 v188, v17 offset:32640                         // 000000006658: D86C7F80 BC000011
	ds_read_b32 v189, v17 offset:32704                         // 000000006660: D86C7FC0 BD000011
	s_mul_i32 s52, s61, 4                                      // 000000006668: 9234843D
	s_add_u32 s8, s52, s8                                      // 00000000666C: 80080834
	s_addc_u32 s9, 0, s9                                       // 000000006670: 82090980
	s_waitcnt lgkmcnt(0)                                       // 000000006674: BF8CC07F
	v_mov_b32_e32 v7, 0                                        // 000000006678: 7E0E0280
	s_mov_b64 exec, s[16:17]                                   // 00000000667C: BEFE0110
	v_mov_b32_e32 v6, v96                                      // 000000006680: 7E0C0360
	s_mov_b64 s[52:53], 0                                      // 000000006684: BEB40180
	v_readlane_b32 s72, v3, 0                                  // 000000006688: D2890048 00010103
	s_cmp_lt_u32 s72, s62                                      // 000000006690: BF0A3E48
	s_cselect_b32 s20, s16, s52                                // 000000006694: 85143410
	v_readlane_b32 s72, v3, 1                                  // 000000006698: D2890048 00010303
	s_cmp_lt_u32 s72, s62                                      // 0000000066A0: BF0A3E48
	s_cselect_b32 s21, s16, s52                                // 0000000066A4: 85153410
	s_mov_b64 exec, s[20:21]                                   // 0000000066A8: BEFE0114
	global_atomic_add_f32 v6, v128, s[8:9]                     // 0000000066AC: DD348000 00088006
	global_atomic_add_f32 v6, v132, s[8:9] offset:256          // 0000000066B4: DD348100 00088406
	s_mov_b64 exec, s[16:17]                                   // 0000000066BC: BEFE0110
	v_mov_b32_e32 v6, v97                                      // 0000000066C0: 7E0C0361
	s_mov_b64 s[52:53], 0                                      // 0000000066C4: BEB40180
	v_readlane_b32 s72, v3, 2                                  // 0000000066C8: D2890048 00010503
	s_cmp_lt_u32 s72, s62                                      // 0000000066D0: BF0A3E48
	s_cselect_b32 s20, s16, s52                                // 0000000066D4: 85143410
	v_readlane_b32 s72, v3, 3                                  // 0000000066D8: D2890048 00010703
	s_cmp_lt_u32 s72, s62                                      // 0000000066E0: BF0A3E48
	s_cselect_b32 s21, s16, s52                                // 0000000066E4: 85153410
	s_mov_b64 exec, s[20:21]                                   // 0000000066E8: BEFE0114
	global_atomic_add_f32 v6, v129, s[8:9]                     // 0000000066EC: DD348000 00088106
	global_atomic_add_f32 v6, v133, s[8:9] offset:256          // 0000000066F4: DD348100 00088506
	s_mov_b64 exec, s[16:17]                                   // 0000000066FC: BEFE0110
	v_mov_b32_e32 v6, v98                                      // 000000006700: 7E0C0362
	s_mov_b64 s[52:53], 0                                      // 000000006704: BEB40180
	v_readlane_b32 s72, v3, 4                                  // 000000006708: D2890048 00010903
	s_cmp_lt_u32 s72, s62                                      // 000000006710: BF0A3E48
	s_cselect_b32 s20, s16, s52                                // 000000006714: 85143410
	v_readlane_b32 s72, v3, 5                                  // 000000006718: D2890048 00010B03
	s_cmp_lt_u32 s72, s62                                      // 000000006720: BF0A3E48
	s_cselect_b32 s21, s16, s52                                // 000000006724: 85153410
	s_mov_b64 exec, s[20:21]                                   // 000000006728: BEFE0114
	global_atomic_add_f32 v6, v136, s[8:9]                     // 00000000672C: DD348000 00088806
	global_atomic_add_f32 v6, v140, s[8:9] offset:256          // 000000006734: DD348100 00088C06
	s_mov_b64 exec, s[16:17]                                   // 00000000673C: BEFE0110
	v_mov_b32_e32 v6, v99                                      // 000000006740: 7E0C0363
	s_mov_b64 s[52:53], 0                                      // 000000006744: BEB40180
	v_readlane_b32 s72, v3, 6                                  // 000000006748: D2890048 00010D03
	s_cmp_lt_u32 s72, s62                                      // 000000006750: BF0A3E48
	s_cselect_b32 s20, s16, s52                                // 000000006754: 85143410
	v_readlane_b32 s72, v3, 7                                  // 000000006758: D2890048 00010F03
	s_cmp_lt_u32 s72, s62                                      // 000000006760: BF0A3E48
	s_cselect_b32 s21, s16, s52                                // 000000006764: 85153410
	s_mov_b64 exec, s[20:21]                                   // 000000006768: BEFE0114
	global_atomic_add_f32 v6, v137, s[8:9]                     // 00000000676C: DD348000 00088906
	global_atomic_add_f32 v6, v141, s[8:9] offset:256          // 000000006774: DD348100 00088D06
	s_mov_b64 exec, s[16:17]                                   // 00000000677C: BEFE0110
	v_mov_b32_e32 v6, v100                                     // 000000006780: 7E0C0364
	s_mov_b64 s[52:53], 0                                      // 000000006784: BEB40180
	v_readlane_b32 s72, v3, 8                                  // 000000006788: D2890048 00011103
	s_cmp_lt_u32 s72, s62                                      // 000000006790: BF0A3E48
	s_cselect_b32 s20, s16, s52                                // 000000006794: 85143410
	v_readlane_b32 s72, v3, 9                                  // 000000006798: D2890048 00011303
	s_cmp_lt_u32 s72, s62                                      // 0000000067A0: BF0A3E48
	s_cselect_b32 s21, s16, s52                                // 0000000067A4: 85153410
	s_mov_b64 exec, s[20:21]                                   // 0000000067A8: BEFE0114
	global_atomic_add_f32 v6, v144, s[8:9]                     // 0000000067AC: DD348000 00089006
	global_atomic_add_f32 v6, v148, s[8:9] offset:256          // 0000000067B4: DD348100 00089406
	s_mov_b64 exec, s[16:17]                                   // 0000000067BC: BEFE0110
	v_mov_b32_e32 v6, v101                                     // 0000000067C0: 7E0C0365
	s_mov_b64 s[52:53], 0                                      // 0000000067C4: BEB40180
	v_readlane_b32 s72, v3, 10                                 // 0000000067C8: D2890048 00011503
	s_cmp_lt_u32 s72, s62                                      // 0000000067D0: BF0A3E48
	s_cselect_b32 s20, s16, s52                                // 0000000067D4: 85143410
	v_readlane_b32 s72, v3, 11                                 // 0000000067D8: D2890048 00011703
	s_cmp_lt_u32 s72, s62                                      // 0000000067E0: BF0A3E48
	s_cselect_b32 s21, s16, s52                                // 0000000067E4: 85153410
	s_mov_b64 exec, s[20:21]                                   // 0000000067E8: BEFE0114
	global_atomic_add_f32 v6, v145, s[8:9]                     // 0000000067EC: DD348000 00089106
	global_atomic_add_f32 v6, v149, s[8:9] offset:256          // 0000000067F4: DD348100 00089506
	s_mov_b64 exec, s[16:17]                                   // 0000000067FC: BEFE0110
	v_mov_b32_e32 v6, v102                                     // 000000006800: 7E0C0366
	s_mov_b64 s[52:53], 0                                      // 000000006804: BEB40180
	v_readlane_b32 s72, v3, 12                                 // 000000006808: D2890048 00011903
	s_cmp_lt_u32 s72, s62                                      // 000000006810: BF0A3E48
	s_cselect_b32 s20, s16, s52                                // 000000006814: 85143410
	v_readlane_b32 s72, v3, 13                                 // 000000006818: D2890048 00011B03
	s_cmp_lt_u32 s72, s62                                      // 000000006820: BF0A3E48
	s_cselect_b32 s21, s16, s52                                // 000000006824: 85153410
	s_mov_b64 exec, s[20:21]                                   // 000000006828: BEFE0114
	global_atomic_add_f32 v6, v152, s[8:9]                     // 00000000682C: DD348000 00089806
	global_atomic_add_f32 v6, v156, s[8:9] offset:256          // 000000006834: DD348100 00089C06
	s_mov_b64 exec, s[16:17]                                   // 00000000683C: BEFE0110
	v_mov_b32_e32 v6, v103                                     // 000000006840: 7E0C0367
	s_mov_b64 s[52:53], 0                                      // 000000006844: BEB40180
	v_readlane_b32 s72, v3, 14                                 // 000000006848: D2890048 00011D03
	s_cmp_lt_u32 s72, s62                                      // 000000006850: BF0A3E48
	s_cselect_b32 s20, s16, s52                                // 000000006854: 85143410
	v_readlane_b32 s72, v3, 15                                 // 000000006858: D2890048 00011F03
	s_cmp_lt_u32 s72, s62                                      // 000000006860: BF0A3E48
	s_cselect_b32 s21, s16, s52                                // 000000006864: 85153410
	s_mov_b64 exec, s[20:21]                                   // 000000006868: BEFE0114
	global_atomic_add_f32 v6, v153, s[8:9]                     // 00000000686C: DD348000 00089906
	global_atomic_add_f32 v6, v157, s[8:9] offset:256          // 000000006874: DD348100 00089D06
	s_mov_b64 exec, s[16:17]                                   // 00000000687C: BEFE0110
	v_mov_b32_e32 v6, v104                                     // 000000006880: 7E0C0368
	s_mov_b64 s[52:53], 0                                      // 000000006884: BEB40180
	v_readlane_b32 s72, v3, 16                                 // 000000006888: D2890048 00012103
	s_cmp_lt_u32 s72, s62                                      // 000000006890: BF0A3E48
	s_cselect_b32 s20, s16, s52                                // 000000006894: 85143410
	v_readlane_b32 s72, v3, 17                                 // 000000006898: D2890048 00012303
	s_cmp_lt_u32 s72, s62                                      // 0000000068A0: BF0A3E48
	s_cselect_b32 s21, s16, s52                                // 0000000068A4: 85153410
	s_mov_b64 exec, s[20:21]                                   // 0000000068A8: BEFE0114
	global_atomic_add_f32 v6, v160, s[8:9]                     // 0000000068AC: DD348000 0008A006
	global_atomic_add_f32 v6, v164, s[8:9] offset:256          // 0000000068B4: DD348100 0008A406
	s_mov_b64 exec, s[16:17]                                   // 0000000068BC: BEFE0110
	v_mov_b32_e32 v6, v105                                     // 0000000068C0: 7E0C0369
	s_mov_b64 s[52:53], 0                                      // 0000000068C4: BEB40180
	v_readlane_b32 s72, v3, 18                                 // 0000000068C8: D2890048 00012503
	s_cmp_lt_u32 s72, s62                                      // 0000000068D0: BF0A3E48
	s_cselect_b32 s20, s16, s52                                // 0000000068D4: 85143410
	v_readlane_b32 s72, v3, 19                                 // 0000000068D8: D2890048 00012703
	s_cmp_lt_u32 s72, s62                                      // 0000000068E0: BF0A3E48
	s_cselect_b32 s21, s16, s52                                // 0000000068E4: 85153410
	s_mov_b64 exec, s[20:21]                                   // 0000000068E8: BEFE0114
	global_atomic_add_f32 v6, v161, s[8:9]                     // 0000000068EC: DD348000 0008A106
	global_atomic_add_f32 v6, v165, s[8:9] offset:256          // 0000000068F4: DD348100 0008A506
	s_mov_b64 exec, s[16:17]                                   // 0000000068FC: BEFE0110
	v_mov_b32_e32 v6, v106                                     // 000000006900: 7E0C036A
	s_mov_b64 s[52:53], 0                                      // 000000006904: BEB40180
	v_readlane_b32 s72, v3, 20                                 // 000000006908: D2890048 00012903
	s_cmp_lt_u32 s72, s62                                      // 000000006910: BF0A3E48
	s_cselect_b32 s20, s16, s52                                // 000000006914: 85143410
	v_readlane_b32 s72, v3, 21                                 // 000000006918: D2890048 00012B03
	s_cmp_lt_u32 s72, s62                                      // 000000006920: BF0A3E48
	s_cselect_b32 s21, s16, s52                                // 000000006924: 85153410
	s_mov_b64 exec, s[20:21]                                   // 000000006928: BEFE0114
	global_atomic_add_f32 v6, v168, s[8:9]                     // 00000000692C: DD348000 0008A806
	global_atomic_add_f32 v6, v172, s[8:9] offset:256          // 000000006934: DD348100 0008AC06
	s_mov_b64 exec, s[16:17]                                   // 00000000693C: BEFE0110
	v_mov_b32_e32 v6, v107                                     // 000000006940: 7E0C036B
	s_mov_b64 s[52:53], 0                                      // 000000006944: BEB40180
	v_readlane_b32 s72, v3, 22                                 // 000000006948: D2890048 00012D03
	s_cmp_lt_u32 s72, s62                                      // 000000006950: BF0A3E48
	s_cselect_b32 s20, s16, s52                                // 000000006954: 85143410
	v_readlane_b32 s72, v3, 23                                 // 000000006958: D2890048 00012F03
	s_cmp_lt_u32 s72, s62                                      // 000000006960: BF0A3E48
	s_cselect_b32 s21, s16, s52                                // 000000006964: 85153410
	s_mov_b64 exec, s[20:21]                                   // 000000006968: BEFE0114
	global_atomic_add_f32 v6, v169, s[8:9]                     // 00000000696C: DD348000 0008A906
	global_atomic_add_f32 v6, v173, s[8:9] offset:256          // 000000006974: DD348100 0008AD06
	s_mov_b64 exec, s[16:17]                                   // 00000000697C: BEFE0110
	v_mov_b32_e32 v6, v108                                     // 000000006980: 7E0C036C
	s_mov_b64 s[52:53], 0                                      // 000000006984: BEB40180
	v_readlane_b32 s72, v3, 24                                 // 000000006988: D2890048 00013103
	s_cmp_lt_u32 s72, s62                                      // 000000006990: BF0A3E48
	s_cselect_b32 s20, s16, s52                                // 000000006994: 85143410
	v_readlane_b32 s72, v3, 25                                 // 000000006998: D2890048 00013303
	s_cmp_lt_u32 s72, s62                                      // 0000000069A0: BF0A3E48
	s_cselect_b32 s21, s16, s52                                // 0000000069A4: 85153410
	s_mov_b64 exec, s[20:21]                                   // 0000000069A8: BEFE0114
	global_atomic_add_f32 v6, v176, s[8:9]                     // 0000000069AC: DD348000 0008B006
	global_atomic_add_f32 v6, v180, s[8:9] offset:256          // 0000000069B4: DD348100 0008B406
	s_mov_b64 exec, s[16:17]                                   // 0000000069BC: BEFE0110
	v_mov_b32_e32 v6, v109                                     // 0000000069C0: 7E0C036D
	s_mov_b64 s[52:53], 0                                      // 0000000069C4: BEB40180
	v_readlane_b32 s72, v3, 26                                 // 0000000069C8: D2890048 00013503
	s_cmp_lt_u32 s72, s62                                      // 0000000069D0: BF0A3E48
	s_cselect_b32 s20, s16, s52                                // 0000000069D4: 85143410
	v_readlane_b32 s72, v3, 27                                 // 0000000069D8: D2890048 00013703
	s_cmp_lt_u32 s72, s62                                      // 0000000069E0: BF0A3E48
	s_cselect_b32 s21, s16, s52                                // 0000000069E4: 85153410
	s_mov_b64 exec, s[20:21]                                   // 0000000069E8: BEFE0114
	global_atomic_add_f32 v6, v177, s[8:9]                     // 0000000069EC: DD348000 0008B106
	global_atomic_add_f32 v6, v181, s[8:9] offset:256          // 0000000069F4: DD348100 0008B506
	s_mov_b64 exec, s[16:17]                                   // 0000000069FC: BEFE0110
	v_mov_b32_e32 v6, v110                                     // 000000006A00: 7E0C036E
	s_mov_b64 s[52:53], 0                                      // 000000006A04: BEB40180
	v_readlane_b32 s72, v3, 28                                 // 000000006A08: D2890048 00013903
	s_cmp_lt_u32 s72, s62                                      // 000000006A10: BF0A3E48
	s_cselect_b32 s20, s16, s52                                // 000000006A14: 85143410
	v_readlane_b32 s72, v3, 29                                 // 000000006A18: D2890048 00013B03
	s_cmp_lt_u32 s72, s62                                      // 000000006A20: BF0A3E48
	s_cselect_b32 s21, s16, s52                                // 000000006A24: 85153410
	s_mov_b64 exec, s[20:21]                                   // 000000006A28: BEFE0114
	global_atomic_add_f32 v6, v184, s[8:9]                     // 000000006A2C: DD348000 0008B806
	global_atomic_add_f32 v6, v188, s[8:9] offset:256          // 000000006A34: DD348100 0008BC06
	s_mov_b64 exec, s[16:17]                                   // 000000006A3C: BEFE0110
	v_mov_b32_e32 v6, v111                                     // 000000006A40: 7E0C036F
	s_mov_b64 s[52:53], 0                                      // 000000006A44: BEB40180
	v_readlane_b32 s72, v3, 30                                 // 000000006A48: D2890048 00013D03
	s_cmp_lt_u32 s72, s62                                      // 000000006A50: BF0A3E48
	s_cselect_b32 s20, s16, s52                                // 000000006A54: 85143410
	v_readlane_b32 s72, v3, 31                                 // 000000006A58: D2890048 00013F03
	s_cmp_lt_u32 s72, s62                                      // 000000006A60: BF0A3E48
	s_cselect_b32 s21, s16, s52                                // 000000006A64: 85153410
	s_mov_b64 exec, s[20:21]                                   // 000000006A68: BEFE0114
	global_atomic_add_f32 v6, v185, s[8:9]                     // 000000006A6C: DD348000 0008B906
	global_atomic_add_f32 v6, v189, s[8:9] offset:256          // 000000006A74: DD348100 0008BD06
	s_mov_b64 exec, s[16:17]                                   // 000000006A7C: BEFE0110
	ds_write_b64 v16, v[130:131]                               // 000000006A80: D89A0000 00008210
	ds_write_b64 v16, v[134:135] offset:4352                   // 000000006A88: D89A1100 00008610
	ds_write_b64 v16, v[138:139] offset:8704                   // 000000006A90: D89A2200 00008A10
	ds_write_b64 v16, v[142:143] offset:13056                  // 000000006A98: D89A3300 00008E10
	ds_write_b64 v16, v[146:147] offset:17408                  // 000000006AA0: D89A4400 00009210
	ds_write_b64 v16, v[150:151] offset:21760                  // 000000006AA8: D89A5500 00009610
	ds_write_b64 v16, v[154:155] offset:26112                  // 000000006AB0: D89A6600 00009A10
	ds_write_b64 v16, v[158:159] offset:30464                  // 000000006AB8: D89A7700 00009E10
	ds_write_b64 v16, v[162:163] offset:2176                   // 000000006AC0: D89A0880 0000A210
	ds_write_b64 v16, v[166:167] offset:6528                   // 000000006AC8: D89A1980 0000A610
	ds_write_b64 v16, v[170:171] offset:10880                  // 000000006AD0: D89A2A80 0000AA10
	ds_write_b64 v16, v[174:175] offset:15232                  // 000000006AD8: D89A3B80 0000AE10
	ds_write_b64 v16, v[178:179] offset:19584                  // 000000006AE0: D89A4C80 0000B210
	ds_write_b64 v16, v[182:183] offset:23936                  // 000000006AE8: D89A5D80 0000B610
	ds_write_b64 v16, v[186:187] offset:28288                  // 000000006AF0: D89A6E80 0000BA10
	ds_write_b64 v16, v[190:191] offset:32640                  // 000000006AF8: D89A7F80 0000BE10
	s_waitcnt lgkmcnt(0)                                       // 000000006B00: BF8CC07F
	s_barrier                                                  // 000000006B04: BF8A0000
	ds_read_b32 v130, v17                                      // 000000006B08: D86C0000 82000011
	ds_read_b32 v131, v17 offset:64                            // 000000006B10: D86C0040 83000011
	ds_read_b32 v134, v17 offset:2176                          // 000000006B18: D86C0880 86000011
	ds_read_b32 v135, v17 offset:2240                          // 000000006B20: D86C08C0 87000011
	ds_read_b32 v138, v17 offset:4352                          // 000000006B28: D86C1100 8A000011
	ds_read_b32 v139, v17 offset:4416                          // 000000006B30: D86C1140 8B000011
	ds_read_b32 v142, v17 offset:6528                          // 000000006B38: D86C1980 8E000011
	ds_read_b32 v143, v17 offset:6592                          // 000000006B40: D86C19C0 8F000011
	ds_read_b32 v146, v17 offset:8704                          // 000000006B48: D86C2200 92000011
	ds_read_b32 v147, v17 offset:8768                          // 000000006B50: D86C2240 93000011
	ds_read_b32 v150, v17 offset:10880                         // 000000006B58: D86C2A80 96000011
	ds_read_b32 v151, v17 offset:10944                         // 000000006B60: D86C2AC0 97000011
	ds_read_b32 v154, v17 offset:13056                         // 000000006B68: D86C3300 9A000011
	ds_read_b32 v155, v17 offset:13120                         // 000000006B70: D86C3340 9B000011
	ds_read_b32 v158, v17 offset:15232                         // 000000006B78: D86C3B80 9E000011
	ds_read_b32 v159, v17 offset:15296                         // 000000006B80: D86C3BC0 9F000011
	ds_read_b32 v162, v17 offset:17408                         // 000000006B88: D86C4400 A2000011
	ds_read_b32 v163, v17 offset:17472                         // 000000006B90: D86C4440 A3000011
	ds_read_b32 v166, v17 offset:19584                         // 000000006B98: D86C4C80 A6000011
	ds_read_b32 v167, v17 offset:19648                         // 000000006BA0: D86C4CC0 A7000011
	ds_read_b32 v170, v17 offset:21760                         // 000000006BA8: D86C5500 AA000011
	ds_read_b32 v171, v17 offset:21824                         // 000000006BB0: D86C5540 AB000011
	ds_read_b32 v174, v17 offset:23936                         // 000000006BB8: D86C5D80 AE000011
	ds_read_b32 v175, v17 offset:24000                         // 000000006BC0: D86C5DC0 AF000011
	ds_read_b32 v178, v17 offset:26112                         // 000000006BC8: D86C6600 B2000011
	ds_read_b32 v179, v17 offset:26176                         // 000000006BD0: D86C6640 B3000011
	ds_read_b32 v182, v17 offset:28288                         // 000000006BD8: D86C6E80 B6000011
	ds_read_b32 v183, v17 offset:28352                         // 000000006BE0: D86C6EC0 B7000011
	ds_read_b32 v186, v17 offset:30464                         // 000000006BE8: D86C7700 BA000011
	ds_read_b32 v187, v17 offset:30528                         // 000000006BF0: D86C7740 BB000011
	ds_read_b32 v190, v17 offset:32640                         // 000000006BF8: D86C7F80 BE000011
	ds_read_b32 v191, v17 offset:32704                         // 000000006C00: D86C7FC0 BF000011
	s_waitcnt lgkmcnt(0)                                       // 000000006C08: BF8CC07F
	v_mov_b32_e32 v7, 0                                        // 000000006C0C: 7E0E0280
	s_mov_b64 exec, s[16:17]                                   // 000000006C10: BEFE0110
	v_mov_b32_e32 v6, v96                                      // 000000006C14: 7E0C0360
	s_mov_b64 s[52:53], 0                                      // 000000006C18: BEB40180
	v_readlane_b32 s72, v3, 0                                  // 000000006C1C: D2890048 00010103
	s_cmp_lt_u32 s72, s62                                      // 000000006C24: BF0A3E48
	s_cselect_b32 s20, s16, s52                                // 000000006C28: 85143410
	v_readlane_b32 s72, v3, 1                                  // 000000006C2C: D2890048 00010303
	s_cmp_lt_u32 s72, s62                                      // 000000006C34: BF0A3E48
	s_cselect_b32 s21, s16, s52                                // 000000006C38: 85153410
	s_mov_b64 exec, s[20:21]                                   // 000000006C3C: BEFE0114
	global_atomic_add_f32 v6, v130, s[8:9] offset:8            // 000000006C40: DD348008 00088206
	global_atomic_add_f32 v6, v134, s[8:9] offset:264          // 000000006C48: DD348108 00088606
	s_mov_b64 exec, s[16:17]                                   // 000000006C50: BEFE0110
	v_mov_b32_e32 v6, v97                                      // 000000006C54: 7E0C0361
	s_mov_b64 s[52:53], 0                                      // 000000006C58: BEB40180
	v_readlane_b32 s72, v3, 2                                  // 000000006C5C: D2890048 00010503
	s_cmp_lt_u32 s72, s62                                      // 000000006C64: BF0A3E48
	s_cselect_b32 s20, s16, s52                                // 000000006C68: 85143410
	v_readlane_b32 s72, v3, 3                                  // 000000006C6C: D2890048 00010703
	s_cmp_lt_u32 s72, s62                                      // 000000006C74: BF0A3E48
	s_cselect_b32 s21, s16, s52                                // 000000006C78: 85153410
	s_mov_b64 exec, s[20:21]                                   // 000000006C7C: BEFE0114
	global_atomic_add_f32 v6, v131, s[8:9] offset:8            // 000000006C80: DD348008 00088306
	global_atomic_add_f32 v6, v135, s[8:9] offset:264          // 000000006C88: DD348108 00088706
	s_mov_b64 exec, s[16:17]                                   // 000000006C90: BEFE0110
	v_mov_b32_e32 v6, v98                                      // 000000006C94: 7E0C0362
	s_mov_b64 s[52:53], 0                                      // 000000006C98: BEB40180
	v_readlane_b32 s72, v3, 4                                  // 000000006C9C: D2890048 00010903
	s_cmp_lt_u32 s72, s62                                      // 000000006CA4: BF0A3E48
	s_cselect_b32 s20, s16, s52                                // 000000006CA8: 85143410
	v_readlane_b32 s72, v3, 5                                  // 000000006CAC: D2890048 00010B03
	s_cmp_lt_u32 s72, s62                                      // 000000006CB4: BF0A3E48
	s_cselect_b32 s21, s16, s52                                // 000000006CB8: 85153410
	s_mov_b64 exec, s[20:21]                                   // 000000006CBC: BEFE0114
	global_atomic_add_f32 v6, v138, s[8:9] offset:8            // 000000006CC0: DD348008 00088A06
	global_atomic_add_f32 v6, v142, s[8:9] offset:264          // 000000006CC8: DD348108 00088E06
	s_mov_b64 exec, s[16:17]                                   // 000000006CD0: BEFE0110
	v_mov_b32_e32 v6, v99                                      // 000000006CD4: 7E0C0363
	s_mov_b64 s[52:53], 0                                      // 000000006CD8: BEB40180
	v_readlane_b32 s72, v3, 6                                  // 000000006CDC: D2890048 00010D03
	s_cmp_lt_u32 s72, s62                                      // 000000006CE4: BF0A3E48
	s_cselect_b32 s20, s16, s52                                // 000000006CE8: 85143410
	v_readlane_b32 s72, v3, 7                                  // 000000006CEC: D2890048 00010F03
	s_cmp_lt_u32 s72, s62                                      // 000000006CF4: BF0A3E48
	s_cselect_b32 s21, s16, s52                                // 000000006CF8: 85153410
	s_mov_b64 exec, s[20:21]                                   // 000000006CFC: BEFE0114
	global_atomic_add_f32 v6, v139, s[8:9] offset:8            // 000000006D00: DD348008 00088B06
	global_atomic_add_f32 v6, v143, s[8:9] offset:264          // 000000006D08: DD348108 00088F06
	s_mov_b64 exec, s[16:17]                                   // 000000006D10: BEFE0110
	v_mov_b32_e32 v6, v100                                     // 000000006D14: 7E0C0364
	s_mov_b64 s[52:53], 0                                      // 000000006D18: BEB40180
	v_readlane_b32 s72, v3, 8                                  // 000000006D1C: D2890048 00011103
	s_cmp_lt_u32 s72, s62                                      // 000000006D24: BF0A3E48
	s_cselect_b32 s20, s16, s52                                // 000000006D28: 85143410
	v_readlane_b32 s72, v3, 9                                  // 000000006D2C: D2890048 00011303
	s_cmp_lt_u32 s72, s62                                      // 000000006D34: BF0A3E48
	s_cselect_b32 s21, s16, s52                                // 000000006D38: 85153410
	s_mov_b64 exec, s[20:21]                                   // 000000006D3C: BEFE0114
	global_atomic_add_f32 v6, v146, s[8:9] offset:8            // 000000006D40: DD348008 00089206
	global_atomic_add_f32 v6, v150, s[8:9] offset:264          // 000000006D48: DD348108 00089606
	s_mov_b64 exec, s[16:17]                                   // 000000006D50: BEFE0110
	v_mov_b32_e32 v6, v101                                     // 000000006D54: 7E0C0365
	s_mov_b64 s[52:53], 0                                      // 000000006D58: BEB40180
	v_readlane_b32 s72, v3, 10                                 // 000000006D5C: D2890048 00011503
	s_cmp_lt_u32 s72, s62                                      // 000000006D64: BF0A3E48
	s_cselect_b32 s20, s16, s52                                // 000000006D68: 85143410
	v_readlane_b32 s72, v3, 11                                 // 000000006D6C: D2890048 00011703
	s_cmp_lt_u32 s72, s62                                      // 000000006D74: BF0A3E48
	s_cselect_b32 s21, s16, s52                                // 000000006D78: 85153410
	s_mov_b64 exec, s[20:21]                                   // 000000006D7C: BEFE0114
	global_atomic_add_f32 v6, v147, s[8:9] offset:8            // 000000006D80: DD348008 00089306
	global_atomic_add_f32 v6, v151, s[8:9] offset:264          // 000000006D88: DD348108 00089706
	s_mov_b64 exec, s[16:17]                                   // 000000006D90: BEFE0110
	v_mov_b32_e32 v6, v102                                     // 000000006D94: 7E0C0366
	s_mov_b64 s[52:53], 0                                      // 000000006D98: BEB40180
	v_readlane_b32 s72, v3, 12                                 // 000000006D9C: D2890048 00011903
	s_cmp_lt_u32 s72, s62                                      // 000000006DA4: BF0A3E48
	s_cselect_b32 s20, s16, s52                                // 000000006DA8: 85143410
	v_readlane_b32 s72, v3, 13                                 // 000000006DAC: D2890048 00011B03
	s_cmp_lt_u32 s72, s62                                      // 000000006DB4: BF0A3E48
	s_cselect_b32 s21, s16, s52                                // 000000006DB8: 85153410
	s_mov_b64 exec, s[20:21]                                   // 000000006DBC: BEFE0114
	global_atomic_add_f32 v6, v154, s[8:9] offset:8            // 000000006DC0: DD348008 00089A06
	global_atomic_add_f32 v6, v158, s[8:9] offset:264          // 000000006DC8: DD348108 00089E06
	s_mov_b64 exec, s[16:17]                                   // 000000006DD0: BEFE0110
	v_mov_b32_e32 v6, v103                                     // 000000006DD4: 7E0C0367
	s_mov_b64 s[52:53], 0                                      // 000000006DD8: BEB40180
	v_readlane_b32 s72, v3, 14                                 // 000000006DDC: D2890048 00011D03
	s_cmp_lt_u32 s72, s62                                      // 000000006DE4: BF0A3E48
	s_cselect_b32 s20, s16, s52                                // 000000006DE8: 85143410
	v_readlane_b32 s72, v3, 15                                 // 000000006DEC: D2890048 00011F03
	s_cmp_lt_u32 s72, s62                                      // 000000006DF4: BF0A3E48
	s_cselect_b32 s21, s16, s52                                // 000000006DF8: 85153410
	s_mov_b64 exec, s[20:21]                                   // 000000006DFC: BEFE0114
	global_atomic_add_f32 v6, v155, s[8:9] offset:8            // 000000006E00: DD348008 00089B06
	global_atomic_add_f32 v6, v159, s[8:9] offset:264          // 000000006E08: DD348108 00089F06
	s_mov_b64 exec, s[16:17]                                   // 000000006E10: BEFE0110
	v_mov_b32_e32 v6, v104                                     // 000000006E14: 7E0C0368
	s_mov_b64 s[52:53], 0                                      // 000000006E18: BEB40180
	v_readlane_b32 s72, v3, 16                                 // 000000006E1C: D2890048 00012103
	s_cmp_lt_u32 s72, s62                                      // 000000006E24: BF0A3E48
	s_cselect_b32 s20, s16, s52                                // 000000006E28: 85143410
	v_readlane_b32 s72, v3, 17                                 // 000000006E2C: D2890048 00012303
	s_cmp_lt_u32 s72, s62                                      // 000000006E34: BF0A3E48
	s_cselect_b32 s21, s16, s52                                // 000000006E38: 85153410
	s_mov_b64 exec, s[20:21]                                   // 000000006E3C: BEFE0114
	global_atomic_add_f32 v6, v162, s[8:9] offset:8            // 000000006E40: DD348008 0008A206
	global_atomic_add_f32 v6, v166, s[8:9] offset:264          // 000000006E48: DD348108 0008A606
	s_mov_b64 exec, s[16:17]                                   // 000000006E50: BEFE0110
	v_mov_b32_e32 v6, v105                                     // 000000006E54: 7E0C0369
	s_mov_b64 s[52:53], 0                                      // 000000006E58: BEB40180
	v_readlane_b32 s72, v3, 18                                 // 000000006E5C: D2890048 00012503
	s_cmp_lt_u32 s72, s62                                      // 000000006E64: BF0A3E48
	s_cselect_b32 s20, s16, s52                                // 000000006E68: 85143410
	v_readlane_b32 s72, v3, 19                                 // 000000006E6C: D2890048 00012703
	s_cmp_lt_u32 s72, s62                                      // 000000006E74: BF0A3E48
	s_cselect_b32 s21, s16, s52                                // 000000006E78: 85153410
	s_mov_b64 exec, s[20:21]                                   // 000000006E7C: BEFE0114
	global_atomic_add_f32 v6, v163, s[8:9] offset:8            // 000000006E80: DD348008 0008A306
	global_atomic_add_f32 v6, v167, s[8:9] offset:264          // 000000006E88: DD348108 0008A706
	s_mov_b64 exec, s[16:17]                                   // 000000006E90: BEFE0110
	v_mov_b32_e32 v6, v106                                     // 000000006E94: 7E0C036A
	s_mov_b64 s[52:53], 0                                      // 000000006E98: BEB40180
	v_readlane_b32 s72, v3, 20                                 // 000000006E9C: D2890048 00012903
	s_cmp_lt_u32 s72, s62                                      // 000000006EA4: BF0A3E48
	s_cselect_b32 s20, s16, s52                                // 000000006EA8: 85143410
	v_readlane_b32 s72, v3, 21                                 // 000000006EAC: D2890048 00012B03
	s_cmp_lt_u32 s72, s62                                      // 000000006EB4: BF0A3E48
	s_cselect_b32 s21, s16, s52                                // 000000006EB8: 85153410
	s_mov_b64 exec, s[20:21]                                   // 000000006EBC: BEFE0114
	global_atomic_add_f32 v6, v170, s[8:9] offset:8            // 000000006EC0: DD348008 0008AA06
	global_atomic_add_f32 v6, v174, s[8:9] offset:264          // 000000006EC8: DD348108 0008AE06
	s_mov_b64 exec, s[16:17]                                   // 000000006ED0: BEFE0110
	v_mov_b32_e32 v6, v107                                     // 000000006ED4: 7E0C036B
	s_mov_b64 s[52:53], 0                                      // 000000006ED8: BEB40180
	v_readlane_b32 s72, v3, 22                                 // 000000006EDC: D2890048 00012D03
	s_cmp_lt_u32 s72, s62                                      // 000000006EE4: BF0A3E48
	s_cselect_b32 s20, s16, s52                                // 000000006EE8: 85143410
	v_readlane_b32 s72, v3, 23                                 // 000000006EEC: D2890048 00012F03
	s_cmp_lt_u32 s72, s62                                      // 000000006EF4: BF0A3E48
	s_cselect_b32 s21, s16, s52                                // 000000006EF8: 85153410
	s_mov_b64 exec, s[20:21]                                   // 000000006EFC: BEFE0114
	global_atomic_add_f32 v6, v171, s[8:9] offset:8            // 000000006F00: DD348008 0008AB06
	global_atomic_add_f32 v6, v175, s[8:9] offset:264          // 000000006F08: DD348108 0008AF06
	s_mov_b64 exec, s[16:17]                                   // 000000006F10: BEFE0110
	v_mov_b32_e32 v6, v108                                     // 000000006F14: 7E0C036C
	s_mov_b64 s[52:53], 0                                      // 000000006F18: BEB40180
	v_readlane_b32 s72, v3, 24                                 // 000000006F1C: D2890048 00013103
	s_cmp_lt_u32 s72, s62                                      // 000000006F24: BF0A3E48
	s_cselect_b32 s20, s16, s52                                // 000000006F28: 85143410
	v_readlane_b32 s72, v3, 25                                 // 000000006F2C: D2890048 00013303
	s_cmp_lt_u32 s72, s62                                      // 000000006F34: BF0A3E48
	s_cselect_b32 s21, s16, s52                                // 000000006F38: 85153410
	s_mov_b64 exec, s[20:21]                                   // 000000006F3C: BEFE0114
	global_atomic_add_f32 v6, v178, s[8:9] offset:8            // 000000006F40: DD348008 0008B206
	global_atomic_add_f32 v6, v182, s[8:9] offset:264          // 000000006F48: DD348108 0008B606
	s_mov_b64 exec, s[16:17]                                   // 000000006F50: BEFE0110
	v_mov_b32_e32 v6, v109                                     // 000000006F54: 7E0C036D
	s_mov_b64 s[52:53], 0                                      // 000000006F58: BEB40180
	v_readlane_b32 s72, v3, 26                                 // 000000006F5C: D2890048 00013503
	s_cmp_lt_u32 s72, s62                                      // 000000006F64: BF0A3E48
	s_cselect_b32 s20, s16, s52                                // 000000006F68: 85143410
	v_readlane_b32 s72, v3, 27                                 // 000000006F6C: D2890048 00013703
	s_cmp_lt_u32 s72, s62                                      // 000000006F74: BF0A3E48
	s_cselect_b32 s21, s16, s52                                // 000000006F78: 85153410
	s_mov_b64 exec, s[20:21]                                   // 000000006F7C: BEFE0114
	global_atomic_add_f32 v6, v179, s[8:9] offset:8            // 000000006F80: DD348008 0008B306
	global_atomic_add_f32 v6, v183, s[8:9] offset:264          // 000000006F88: DD348108 0008B706
	s_mov_b64 exec, s[16:17]                                   // 000000006F90: BEFE0110
	v_mov_b32_e32 v6, v110                                     // 000000006F94: 7E0C036E
	s_mov_b64 s[52:53], 0                                      // 000000006F98: BEB40180
	v_readlane_b32 s72, v3, 28                                 // 000000006F9C: D2890048 00013903
	s_cmp_lt_u32 s72, s62                                      // 000000006FA4: BF0A3E48
	s_cselect_b32 s20, s16, s52                                // 000000006FA8: 85143410
	v_readlane_b32 s72, v3, 29                                 // 000000006FAC: D2890048 00013B03
	s_cmp_lt_u32 s72, s62                                      // 000000006FB4: BF0A3E48
	s_cselect_b32 s21, s16, s52                                // 000000006FB8: 85153410
	s_mov_b64 exec, s[20:21]                                   // 000000006FBC: BEFE0114
	global_atomic_add_f32 v6, v186, s[8:9] offset:8            // 000000006FC0: DD348008 0008BA06
	global_atomic_add_f32 v6, v190, s[8:9] offset:264          // 000000006FC8: DD348108 0008BE06
	s_mov_b64 exec, s[16:17]                                   // 000000006FD0: BEFE0110
	v_mov_b32_e32 v6, v111                                     // 000000006FD4: 7E0C036F
	s_mov_b64 s[52:53], 0                                      // 000000006FD8: BEB40180
	v_readlane_b32 s72, v3, 30                                 // 000000006FDC: D2890048 00013D03
	s_cmp_lt_u32 s72, s62                                      // 000000006FE4: BF0A3E48
	s_cselect_b32 s20, s16, s52                                // 000000006FE8: 85143410
	v_readlane_b32 s72, v3, 31                                 // 000000006FEC: D2890048 00013F03
	s_cmp_lt_u32 s72, s62                                      // 000000006FF4: BF0A3E48
	s_cselect_b32 s21, s16, s52                                // 000000006FF8: 85153410
	s_mov_b64 exec, s[20:21]                                   // 000000006FFC: BEFE0114
	global_atomic_add_f32 v6, v187, s[8:9] offset:8            // 000000007000: DD348008 0008BB06
	global_atomic_add_f32 v6, v191, s[8:9] offset:264          // 000000007008: DD348108 0008BF06
	s_mov_b64 exec, s[16:17]                                   // 000000007010: BEFE0110
	s_branch label_2072                                        // 000000007014: BF820EA9

0000000000007018 <label_11C9>:
	s_waitcnt vmcnt(2) lgkmcnt(0)                              // 000000007018: BF8C0072
	s_barrier                                                  // 00000000701C: BF8A0000
	v_mov_b32_e32 v48, v32                                     // 000000007020: 7E600320
	v_mov_b32_e32 v49, v33                                     // 000000007024: 7E620321
	v_mov_b32_e32 v50, v34                                     // 000000007028: 7E640322
	v_mov_b32_e32 v51, v35                                     // 00000000702C: 7E660323
	v_mov_b32_e32 v52, v36                                     // 000000007030: 7E680324
	v_mov_b32_e32 v53, v37                                     // 000000007034: 7E6A0325
	v_mov_b32_e32 v54, v38                                     // 000000007038: 7E6C0326
	v_mov_b32_e32 v55, v39                                     // 00000000703C: 7E6E0327
	v_mul_f32_dpp v4, v20, v48 row_newbcast:0 row_mask:0xf bank_mask:0xf// 000000007040: 0A0860FA FF015014
	v_mfma_f32_16x16x128_f8f6f4 v[8:11], a[128:135], a[0:7], 0 // 000000007048: D3AD0008 1A020180
	buffer_load_dword v23, v19, s[32:35], 0 offen              // 000000007050: E0501000 80081713
	buffer_load_dwordx4 a[144:147], v60, s[76:79], 0 offen     // 000000007058: E05C1000 8093903C
	v_mul_f32_dpp v6, v20, v49 row_newbcast:0 row_mask:0xf bank_mask:0xf// 000000007060: 0A0C62FA FF015014
	v_mfma_f32_16x16x128_f8f6f4 v[12:15], a[128:135], a[8:15], 0// 000000007068: D3AD000C 1A021180
	s_nop 5                                                    // 000000007070: BF800005
	v_fma_f32 v64, v8, v4, v64                                 // 000000007074: D1CB0040 05020908
	v_fma_f32 v65, v9, v4, v65                                 // 00000000707C: D1CB0041 05060909
	v_fma_f32 v66, v10, v4, v66                                // 000000007084: D1CB0042 050A090A
	v_fma_f32 v67, v11, v4, v67                                // 00000000708C: D1CB0043 050E090B
	v_mul_f32_dpp v4, v20, v50 row_newbcast:0 row_mask:0xf bank_mask:0xf// 000000007094: 0A0864FA FF015014
	v_mfma_f32_16x16x128_f8f6f4 v[8:11], a[128:135], a[16:23], 0// 00000000709C: D3AD0008 1A022180
	buffer_load_dwordx4 a[148:151], v60, s[76:79], 0 offen offset:1024// 0000000070A4: E05C1400 8093943C
	s_nop 5                                                    // 0000000070AC: BF800005
	v_fma_f32 v68, v12, v6, v68                                // 0000000070B0: D1CB0044 05120D0C
	v_fma_f32 v69, v13, v6, v69                                // 0000000070B8: D1CB0045 05160D0D
	v_fma_f32 v70, v14, v6, v70                                // 0000000070C0: D1CB0046 051A0D0E
	v_fma_f32 v71, v15, v6, v71                                // 0000000070C8: D1CB0047 051E0D0F
	v_mul_f32_dpp v6, v20, v51 row_newbcast:0 row_mask:0xf bank_mask:0xf// 0000000070D0: 0A0C66FA FF015014
	v_mfma_f32_16x16x128_f8f6f4 v[12:15], a[128:135], a[24:31], 0// 0000000070D8: D3AD000C 1A023180
	s_nop 5                                                    // 0000000070E0: BF800005
	v_fma_f32 v72, v8, v4, v72                                 // 0000000070E4: D1CB0048 05220908
	v_fma_f32 v73, v9, v4, v73                                 // 0000000070EC: D1CB0049 05260909
	v_fma_f32 v74, v10, v4, v74                                // 0000000070F4: D1CB004A 052A090A
	v_fma_f32 v75, v11, v4, v75                                // 0000000070FC: D1CB004B 052E090B
	v_mul_f32_dpp v4, v20, v52 row_newbcast:0 row_mask:0xf bank_mask:0xf// 000000007104: 0A0868FA FF015014
	v_mfma_f32_16x16x128_f8f6f4 v[8:11], a[128:135], a[32:39], 0// 00000000710C: D3AD0008 1A024180
	buffer_load_dwordx4 a[152:155], v61, s[76:79], 0 offen     // 000000007114: E05C1000 8093983D
	s_nop 5                                                    // 00000000711C: BF800005
	v_fma_f32 v76, v12, v6, v76                                // 000000007120: D1CB004C 05320D0C
	v_fma_f32 v77, v13, v6, v77                                // 000000007128: D1CB004D 05360D0D
	v_fma_f32 v78, v14, v6, v78                                // 000000007130: D1CB004E 053A0D0E
	v_fma_f32 v79, v15, v6, v79                                // 000000007138: D1CB004F 053E0D0F
	v_mul_f32_dpp v6, v20, v53 row_newbcast:0 row_mask:0xf bank_mask:0xf// 000000007140: 0A0C6AFA FF015014
	v_mfma_f32_16x16x128_f8f6f4 v[12:15], a[128:135], a[40:47], 0// 000000007148: D3AD000C 1A025180
	s_nop 5                                                    // 000000007150: BF800005
	v_fma_f32 v80, v8, v4, v80                                 // 000000007154: D1CB0050 05420908
	v_fma_f32 v81, v9, v4, v81                                 // 00000000715C: D1CB0051 05460909
	v_fma_f32 v82, v10, v4, v82                                // 000000007164: D1CB0052 054A090A
	v_fma_f32 v83, v11, v4, v83                                // 00000000716C: D1CB0053 054E090B
	v_mul_f32_dpp v4, v20, v54 row_newbcast:0 row_mask:0xf bank_mask:0xf// 000000007174: 0A086CFA FF015014
	v_mfma_f32_16x16x128_f8f6f4 v[8:11], a[128:135], a[48:55], 0// 00000000717C: D3AD0008 1A026180
	buffer_load_dwordx4 a[156:159], v61, s[76:79], 0 offen offset:1024// 000000007184: E05C1400 80939C3D
	s_nop 5                                                    // 00000000718C: BF800005
	v_fma_f32 v84, v12, v6, v84                                // 000000007190: D1CB0054 05520D0C
	v_fma_f32 v85, v13, v6, v85                                // 000000007198: D1CB0055 05560D0D
	v_fma_f32 v86, v14, v6, v86                                // 0000000071A0: D1CB0056 055A0D0E
	v_fma_f32 v87, v15, v6, v87                                // 0000000071A8: D1CB0057 055E0D0F
	v_mul_f32_dpp v6, v20, v55 row_newbcast:0 row_mask:0xf bank_mask:0xf// 0000000071B0: 0A0C6EFA FF015014
	v_mfma_f32_16x16x128_f8f6f4 v[12:15], a[128:135], a[56:63], 0// 0000000071B8: D3AD000C 1A027180
	s_nop 5                                                    // 0000000071C0: BF800005
	v_fma_f32 v88, v8, v4, v88                                 // 0000000071C4: D1CB0058 05620908
	v_fma_f32 v89, v9, v4, v89                                 // 0000000071CC: D1CB0059 05660909
	v_fma_f32 v90, v10, v4, v90                                // 0000000071D4: D1CB005A 056A090A
	v_fma_f32 v91, v11, v4, v91                                // 0000000071DC: D1CB005B 056E090B
	s_waitcnt vmcnt(5)                                         // 0000000071E4: BF8C0F75
	v_mul_f32_dpp v4, v20, v48 row_newbcast:0 row_mask:0xf bank_mask:0xf// 0000000071E8: 0A0860FA FF015014
	v_mfma_f32_16x16x128_f8f6f4 v[8:11], a[136:143], a[0:7], 0 // 0000000071F0: D3AD0008 1A020188
	buffer_load_dwordx4 v56, s[20:23], 0 offen lds             // 0000000071F8: E05D1000 80050038
	s_add_u32 m0, 0x400, s46                                   // 000000007200: 807C2EFF 00000400
	s_nop 5                                                    // 000000007208: BF800005
	v_fma_f32 v92, v12, v6, v92                                // 00000000720C: D1CB005C 05720D0C
	v_fma_f32 v93, v13, v6, v93                                // 000000007214: D1CB005D 05760D0D
	v_fma_f32 v94, v14, v6, v94                                // 00000000721C: D1CB005E 057A0D0E
	v_fma_f32 v95, v15, v6, v95                                // 000000007224: D1CB005F 057E0D0F
	v_mul_f32_dpp v6, v20, v49 row_newbcast:0 row_mask:0xf bank_mask:0xf// 00000000722C: 0A0C62FA FF015014
	v_mfma_f32_16x16x128_f8f6f4 v[12:15], a[136:143], a[8:15], 0// 000000007234: D3AD000C 1A021188
	s_nop 5                                                    // 00000000723C: BF800005
	v_fma_f32 v96, v8, v4, v96                                 // 000000007240: D1CB0060 05820908
	v_fma_f32 v97, v9, v4, v97                                 // 000000007248: D1CB0061 05860909
	v_fma_f32 v98, v10, v4, v98                                // 000000007250: D1CB0062 058A090A
	v_fma_f32 v99, v11, v4, v99                                // 000000007258: D1CB0063 058E090B
	v_mul_f32_dpp v4, v20, v50 row_newbcast:0 row_mask:0xf bank_mask:0xf// 000000007260: 0A0864FA FF015014
	v_mfma_f32_16x16x128_f8f6f4 v[8:11], a[136:143], a[16:23], 0// 000000007268: D3AD0008 1A022188
	buffer_load_dwordx4 v57, s[20:23], 0 offen lds             // 000000007270: E05D1000 80050039
	s_add_u32 m0, 0x800, s46                                   // 000000007278: 807C2EFF 00000800
	s_nop 5                                                    // 000000007280: BF800005
	v_fma_f32 v100, v12, v6, v100                              // 000000007284: D1CB0064 05920D0C
	v_fma_f32 v101, v13, v6, v101                              // 00000000728C: D1CB0065 05960D0D
	v_fma_f32 v102, v14, v6, v102                              // 000000007294: D1CB0066 059A0D0E
	v_fma_f32 v103, v15, v6, v103                              // 00000000729C: D1CB0067 059E0D0F
	v_mul_f32_dpp v6, v20, v51 row_newbcast:0 row_mask:0xf bank_mask:0xf// 0000000072A4: 0A0C66FA FF015014
	v_mfma_f32_16x16x128_f8f6f4 v[12:15], a[136:143], a[24:31], 0// 0000000072AC: D3AD000C 1A023188
	s_nop 5                                                    // 0000000072B4: BF800005
	v_fma_f32 v104, v8, v4, v104                               // 0000000072B8: D1CB0068 05A20908
	v_fma_f32 v105, v9, v4, v105                               // 0000000072C0: D1CB0069 05A60909
	v_fma_f32 v106, v10, v4, v106                              // 0000000072C8: D1CB006A 05AA090A
	v_fma_f32 v107, v11, v4, v107                              // 0000000072D0: D1CB006B 05AE090B
	v_mul_f32_dpp v4, v20, v52 row_newbcast:0 row_mask:0xf bank_mask:0xf// 0000000072D8: 0A0868FA FF015014
	v_mfma_f32_16x16x128_f8f6f4 v[8:11], a[136:143], a[32:39], 0// 0000000072E0: D3AD0008 1A024188
	buffer_load_dwordx4 v58, s[20:23], 0 offen lds             // 0000000072E8: E05D1000 8005003A
	s_add_u32 m0, 0xc00, s46                                   // 0000000072F0: 807C2EFF 00000C00
	s_nop 5                                                    // 0000000072F8: BF800005
	v_fma_f32 v108, v12, v6, v108                              // 0000000072FC: D1CB006C 05B20D0C
	v_fma_f32 v109, v13, v6, v109                              // 000000007304: D1CB006D 05B60D0D
	v_fma_f32 v110, v14, v6, v110                              // 00000000730C: D1CB006E 05BA0D0E
	v_fma_f32 v111, v15, v6, v111                              // 000000007314: D1CB006F 05BE0D0F
	v_mul_f32_dpp v6, v20, v53 row_newbcast:0 row_mask:0xf bank_mask:0xf// 00000000731C: 0A0C6AFA FF015014
	v_mfma_f32_16x16x128_f8f6f4 v[12:15], a[136:143], a[40:47], 0// 000000007324: D3AD000C 1A025188
	s_nop 5                                                    // 00000000732C: BF800005
	v_fma_f32 v112, v8, v4, v112                               // 000000007330: D1CB0070 05C20908
	v_fma_f32 v113, v9, v4, v113                               // 000000007338: D1CB0071 05C60909
	v_fma_f32 v114, v10, v4, v114                              // 000000007340: D1CB0072 05CA090A
	v_fma_f32 v115, v11, v4, v115                              // 000000007348: D1CB0073 05CE090B
	v_mul_f32_dpp v4, v20, v54 row_newbcast:0 row_mask:0xf bank_mask:0xf// 000000007350: 0A086CFA FF015014
	v_mfma_f32_16x16x128_f8f6f4 v[8:11], a[136:143], a[48:55], 0// 000000007358: D3AD0008 1A026188
	buffer_load_dwordx4 v59, s[20:23], 0 offen lds             // 000000007360: E05D1000 8005003B
	s_add_u32 m0, 0, s47                                       // 000000007368: 807C2F80
	s_add_u32 s52, 0x80, s70                                   // 00000000736C: 803446FF 00000080
	s_cmp_lt_u32 s52, s71                                      // 000000007374: BF0A4734
	s_cselect_b32 s73, s73, 0                                  // 000000007378: 85498049
	s_cselect_b32 s4, s4, 0                                    // 00000000737C: 85048004
	s_nop 5                                                    // 000000007380: BF800005
	v_fma_f32 v116, v12, v6, v116                              // 000000007384: D1CB0074 05D20D0C
	v_fma_f32 v117, v13, v6, v117                              // 00000000738C: D1CB0075 05D60D0D
	v_fma_f32 v118, v14, v6, v118                              // 000000007394: D1CB0076 05DA0D0E
	v_fma_f32 v119, v15, v6, v119                              // 00000000739C: D1CB0077 05DE0D0F
	v_mul_f32_dpp v6, v20, v55 row_newbcast:0 row_mask:0xf bank_mask:0xf// 0000000073A4: 0A0C6EFA FF015014
	v_mfma_f32_16x16x128_f8f6f4 v[12:15], a[136:143], a[56:63], 0// 0000000073AC: D3AD000C 1A027188
	s_add_u32 s32, s4, s32                                     // 0000000073B4: 80202004
	s_addc_u32 s33, 0, s33                                     // 0000000073B8: 82212180
	s_nop 5                                                    // 0000000073BC: BF800005
	v_fma_f32 v120, v8, v4, v120                               // 0000000073C0: D1CB0078 05E20908
	v_fma_f32 v121, v9, v4, v121                               // 0000000073C8: D1CB0079 05E60909
	v_fma_f32 v122, v10, v4, v122                              // 0000000073D0: D1CB007A 05EA090A
	v_fma_f32 v123, v11, v4, v123                              // 0000000073D8: D1CB007B 05EE090B
	s_nop 5                                                    // 0000000073E0: BF800005
	v_fma_f32 v124, v12, v6, v124                              // 0000000073E4: D1CB007C 05F20D0C
	v_fma_f32 v125, v13, v6, v125                              // 0000000073EC: D1CB007D 05F60D0D
	v_fma_f32 v126, v14, v6, v126                              // 0000000073F4: D1CB007E 05FA0D0E
	v_fma_f32 v127, v15, v6, v127                              // 0000000073FC: D1CB007F 05FE0D0F
	buffer_load_dword v32, v24, s[28:31], 0 offen              // 000000007404: E0501000 80072018
	buffer_load_dword v33, v25, s[28:31], 0 offen              // 00000000740C: E0501000 80072119
	buffer_load_dword v34, v26, s[28:31], 0 offen              // 000000007414: E0501000 8007221A
	buffer_load_dword v35, v27, s[28:31], 0 offen              // 00000000741C: E0501000 8007231B
	buffer_load_dword v36, v28, s[28:31], 0 offen              // 000000007424: E0501000 8007241C
	buffer_load_dword v37, v29, s[28:31], 0 offen              // 00000000742C: E0501000 8007251D
	buffer_load_dword v38, v30, s[28:31], 0 offen              // 000000007434: E0501000 8007261E
	buffer_load_dword v39, v31, s[28:31], 0 offen              // 00000000743C: E0501000 8007271F
	s_waitcnt vmcnt(12)                                        // 000000007444: BF8C0F7C
	v_mul_f32_dpp v4, v23, v48 row_newbcast:0 row_mask:0xf bank_mask:0xf// 000000007448: 0A0860FA FF015017
	v_mfma_f32_16x16x128_f8f6f4 v[8:11], a[144:151], a[0:7], 0 // 000000007450: D3AD0008 1A020190
	buffer_load_dword v20, v18, s[32:35], 0 offen              // 000000007458: E0501000 80081412
	buffer_load_dwordx4 a[128:131], v60, s[24:27], 0 offen     // 000000007460: E05C1000 8086803C
	v_mfma_f32_16x16x128_f8f6f4 v[12:15], a[152:159], a[0:7], 0// 000000007468: D3AD000C 1A020198
	ds_read_b128 a[64:67], v2 offset:16512                     // 000000007470: DBFE4080 40000002
	ds_read_b128 a[68:71], v2 offset:16576                     // 000000007478: DBFE40C0 44000002
	s_nop 5                                                    // 000000007480: BF800005
	v_fma_f32 v128, v8, v4, v128                               // 000000007484: D1CB0080 06020908
	v_fma_f32 v129, v9, v4, v129                               // 00000000748C: D1CB0081 06060909
	v_fma_f32 v130, v10, v4, v130                              // 000000007494: D1CB0082 060A090A
	v_fma_f32 v131, v11, v4, v131                              // 00000000749C: D1CB0083 060E090B
	v_mul_f32_dpp v6, v23, v49 row_newbcast:0 row_mask:0xf bank_mask:0xf// 0000000074A4: 0A0C62FA FF015017
	v_mfma_f32_16x16x128_f8f6f4 v[8:11], a[144:151], a[8:15], 0// 0000000074AC: D3AD0008 1A021190
	buffer_load_dwordx4 a[132:135], v60, s[24:27], 0 offen offset:1024// 0000000074B4: E05C1400 8086843C
	s_nop 5                                                    // 0000000074BC: BF800005
	v_fma_f32 v160, v12, v4, v160                              // 0000000074C0: D1CB00A0 0682090C
	v_fma_f32 v161, v13, v4, v161                              // 0000000074C8: D1CB00A1 0686090D
	v_fma_f32 v162, v14, v4, v162                              // 0000000074D0: D1CB00A2 068A090E
	v_fma_f32 v163, v15, v4, v163                              // 0000000074D8: D1CB00A3 068E090F
	v_mfma_f32_16x16x128_f8f6f4 v[12:15], a[152:159], a[8:15], 0// 0000000074E0: D3AD000C 1A021198
	ds_read_b128 a[72:75], v2 offset:17024                     // 0000000074E8: DBFE4280 48000002
	ds_read_b128 a[76:79], v2 offset:17088                     // 0000000074F0: DBFE42C0 4C000002
	s_nop 5                                                    // 0000000074F8: BF800005
	v_fma_f32 v132, v8, v6, v132                               // 0000000074FC: D1CB0084 06120D08
	v_fma_f32 v133, v9, v6, v133                               // 000000007504: D1CB0085 06160D09
	v_fma_f32 v134, v10, v6, v134                              // 00000000750C: D1CB0086 061A0D0A
	v_fma_f32 v135, v11, v6, v135                              // 000000007514: D1CB0087 061E0D0B
	v_mul_f32_dpp v4, v23, v50 row_newbcast:0 row_mask:0xf bank_mask:0xf// 00000000751C: 0A0864FA FF015017
	v_mfma_f32_16x16x128_f8f6f4 v[8:11], a[144:151], a[16:23], 0// 000000007524: D3AD0008 1A022190
	buffer_load_dwordx4 a[136:139], v61, s[24:27], 0 offen     // 00000000752C: E05C1000 8086883D
	s_nop 5                                                    // 000000007534: BF800005
	v_fma_f32 v164, v12, v6, v164                              // 000000007538: D1CB00A4 06920D0C
	v_fma_f32 v165, v13, v6, v165                              // 000000007540: D1CB00A5 06960D0D
	v_fma_f32 v166, v14, v6, v166                              // 000000007548: D1CB00A6 069A0D0E
	v_fma_f32 v167, v15, v6, v167                              // 000000007550: D1CB00A7 069E0D0F
	v_mfma_f32_16x16x128_f8f6f4 v[12:15], a[152:159], a[16:23], 0// 000000007558: D3AD000C 1A022198
	ds_read_b128 a[80:83], v2 offset:17536                     // 000000007560: DBFE4480 50000002
	ds_read_b128 a[84:87], v2 offset:17600                     // 000000007568: DBFE44C0 54000002
	s_nop 5                                                    // 000000007570: BF800005
	v_fma_f32 v136, v8, v4, v136                               // 000000007574: D1CB0088 06220908
	v_fma_f32 v137, v9, v4, v137                               // 00000000757C: D1CB0089 06260909
	v_fma_f32 v138, v10, v4, v138                              // 000000007584: D1CB008A 062A090A
	v_fma_f32 v139, v11, v4, v139                              // 00000000758C: D1CB008B 062E090B
	v_mul_f32_dpp v6, v23, v51 row_newbcast:0 row_mask:0xf bank_mask:0xf// 000000007594: 0A0C66FA FF015017
	v_mfma_f32_16x16x128_f8f6f4 v[8:11], a[144:151], a[24:31], 0// 00000000759C: D3AD0008 1A023190
	buffer_load_dwordx4 a[140:143], v61, s[24:27], 0 offen offset:1024// 0000000075A4: E05C1400 80868C3D
	s_nop 5                                                    // 0000000075AC: BF800005
	v_fma_f32 v168, v12, v4, v168                              // 0000000075B0: D1CB00A8 06A2090C
	v_fma_f32 v169, v13, v4, v169                              // 0000000075B8: D1CB00A9 06A6090D
	v_fma_f32 v170, v14, v4, v170                              // 0000000075C0: D1CB00AA 06AA090E
	v_fma_f32 v171, v15, v4, v171                              // 0000000075C8: D1CB00AB 06AE090F
	v_mfma_f32_16x16x128_f8f6f4 v[12:15], a[152:159], a[24:31], 0// 0000000075D0: D3AD000C 1A023198
	ds_read_b128 a[88:91], v2 offset:18048                     // 0000000075D8: DBFE4680 58000002
	ds_read_b128 a[92:95], v2 offset:18112                     // 0000000075E0: DBFE46C0 5C000002
	s_nop 5                                                    // 0000000075E8: BF800005
	v_fma_f32 v140, v8, v6, v140                               // 0000000075EC: D1CB008C 06320D08
	v_fma_f32 v141, v9, v6, v141                               // 0000000075F4: D1CB008D 06360D09
	v_fma_f32 v142, v10, v6, v142                              // 0000000075FC: D1CB008E 063A0D0A
	v_fma_f32 v143, v11, v6, v143                              // 000000007604: D1CB008F 063E0D0B
	v_mul_f32_dpp v4, v23, v52 row_newbcast:0 row_mask:0xf bank_mask:0xf// 00000000760C: 0A0868FA FF015017
	v_mfma_f32_16x16x128_f8f6f4 v[8:11], a[144:151], a[32:39], 0// 000000007614: D3AD0008 1A024190
	s_nop 5                                                    // 00000000761C: BF800005
	v_fma_f32 v172, v12, v6, v172                              // 000000007620: D1CB00AC 06B20D0C
	v_fma_f32 v173, v13, v6, v173                              // 000000007628: D1CB00AD 06B60D0D
	v_fma_f32 v174, v14, v6, v174                              // 000000007630: D1CB00AE 06BA0D0E
	v_fma_f32 v175, v15, v6, v175                              // 000000007638: D1CB00AF 06BE0D0F
	v_mfma_f32_16x16x128_f8f6f4 v[12:15], a[152:159], a[32:39], 0// 000000007640: D3AD000C 1A024198
	ds_read_b128 a[96:99], v2 offset:18560                     // 000000007648: DBFE4880 60000002
	ds_read_b128 a[100:103], v2 offset:18624                   // 000000007650: DBFE48C0 64000002
	s_nop 5                                                    // 000000007658: BF800005
	v_fma_f32 v144, v8, v4, v144                               // 00000000765C: D1CB0090 06420908
	v_fma_f32 v145, v9, v4, v145                               // 000000007664: D1CB0091 06460909
	v_fma_f32 v146, v10, v4, v146                              // 00000000766C: D1CB0092 064A090A
	v_fma_f32 v147, v11, v4, v147                              // 000000007674: D1CB0093 064E090B
	v_mul_f32_dpp v6, v23, v53 row_newbcast:0 row_mask:0xf bank_mask:0xf// 00000000767C: 0A0C6AFA FF015017
	v_mfma_f32_16x16x128_f8f6f4 v[8:11], a[144:151], a[40:47], 0// 000000007684: D3AD0008 1A025190
	s_nop 5                                                    // 00000000768C: BF800005
	v_fma_f32 v176, v12, v4, v176                              // 000000007690: D1CB00B0 06C2090C
	v_fma_f32 v177, v13, v4, v177                              // 000000007698: D1CB00B1 06C6090D
	v_fma_f32 v178, v14, v4, v178                              // 0000000076A0: D1CB00B2 06CA090E
	v_fma_f32 v179, v15, v4, v179                              // 0000000076A8: D1CB00B3 06CE090F
	v_mfma_f32_16x16x128_f8f6f4 v[12:15], a[152:159], a[40:47], 0// 0000000076B0: D3AD000C 1A025198
	ds_read_b128 a[104:107], v2 offset:19072                   // 0000000076B8: DBFE4A80 68000002
	ds_read_b128 a[108:111], v2 offset:19136                   // 0000000076C0: DBFE4AC0 6C000002
	s_add_u32 s52, 0x100, s70                                  // 0000000076C8: 803446FF 00000100
	s_cmp_lt_u32 s52, s71                                      // 0000000076D0: BF0A4734
	s_cselect_b32 s58, s58, 0                                  // 0000000076D4: 853A803A
	s_nop 5                                                    // 0000000076D8: BF800005
	v_fma_f32 v148, v8, v6, v148                               // 0000000076DC: D1CB0094 06520D08
	v_fma_f32 v149, v9, v6, v149                               // 0000000076E4: D1CB0095 06560D09
	v_fma_f32 v150, v10, v6, v150                              // 0000000076EC: D1CB0096 065A0D0A
	v_fma_f32 v151, v11, v6, v151                              // 0000000076F4: D1CB0097 065E0D0B
	v_mul_f32_dpp v4, v23, v54 row_newbcast:0 row_mask:0xf bank_mask:0xf// 0000000076FC: 0A086CFA FF015017
	v_mfma_f32_16x16x128_f8f6f4 v[8:11], a[144:151], a[48:55], 0// 000000007704: D3AD0008 1A026190
	s_add_u32 s76, s73, s24                                    // 00000000770C: 804C1849
	s_addc_u32 s77, 0, s77                                     // 000000007710: 824D4D80
	s_nop 5                                                    // 000000007714: BF800005
	v_fma_f32 v180, v12, v6, v180                              // 000000007718: D1CB00B4 06D20D0C
	v_fma_f32 v181, v13, v6, v181                              // 000000007720: D1CB00B5 06D60D0D
	v_fma_f32 v182, v14, v6, v182                              // 000000007728: D1CB00B6 06DA0D0E
	v_fma_f32 v183, v15, v6, v183                              // 000000007730: D1CB00B7 06DE0D0F
	v_mfma_f32_16x16x128_f8f6f4 v[12:15], a[152:159], a[48:55], 0// 000000007738: D3AD000C 1A026198
	ds_read_b128 a[112:115], v2 offset:19584                   // 000000007740: DBFE4C80 70000002
	ds_read_b128 a[116:119], v2 offset:19648                   // 000000007748: DBFE4CC0 74000002
	s_add_u32 s52, 0x180, s70                                  // 000000007750: 803446FF 00000180
	s_cmp_lt_u32 s52, s71                                      // 000000007758: BF0A4734
	s_cselect_b32 s57, s57, 0                                  // 00000000775C: 85398039
	s_cselect_b32 s6, s6, 0                                    // 000000007760: 85068006
	s_nop 5                                                    // 000000007764: BF800005
	v_fma_f32 v152, v8, v4, v152                               // 000000007768: D1CB0098 06620908
	v_fma_f32 v153, v9, v4, v153                               // 000000007770: D1CB0099 06660909
	v_fma_f32 v154, v10, v4, v154                              // 000000007778: D1CB009A 066A090A
	v_fma_f32 v155, v11, v4, v155                              // 000000007780: D1CB009B 066E090B
	v_mul_f32_dpp v6, v23, v55 row_newbcast:0 row_mask:0xf bank_mask:0xf// 000000007788: 0A0C6EFA FF015017
	v_mfma_f32_16x16x128_f8f6f4 v[8:11], a[144:151], a[56:63], 0// 000000007790: D3AD0008 1A027190
	s_add_u32 s20, s57, s20                                    // 000000007798: 80141439
	s_addc_u32 s21, 0, s21                                     // 00000000779C: 82151580
	s_add_u32 s28, s6, s28                                     // 0000000077A0: 801C1C06
	s_addc_u32 s29, 0, s29                                     // 0000000077A4: 821D1D80
	s_nop 5                                                    // 0000000077A8: BF800005
	v_fma_f32 v184, v12, v4, v184                              // 0000000077AC: D1CB00B8 06E2090C
	v_fma_f32 v185, v13, v4, v185                              // 0000000077B4: D1CB00B9 06E6090D
	v_fma_f32 v186, v14, v4, v186                              // 0000000077BC: D1CB00BA 06EA090E
	v_fma_f32 v187, v15, v4, v187                              // 0000000077C4: D1CB00BB 06EE090F
	v_mfma_f32_16x16x128_f8f6f4 v[12:15], a[152:159], a[56:63], 0// 0000000077CC: D3AD000C 1A027198
	ds_read_b128 a[120:123], v2 offset:20096                   // 0000000077D4: DBFE4E80 78000002
	ds_read_b128 a[124:127], v2 offset:20160                   // 0000000077DC: DBFE4EC0 7C000002
	s_add_u32 s24, s58, s24                                    // 0000000077E4: 8018183A
	s_addc_u32 s25, 0, s25                                     // 0000000077E8: 82191980
	s_nop 5                                                    // 0000000077EC: BF800005
	v_fma_f32 v156, v8, v6, v156                               // 0000000077F0: D1CB009C 06720D08
	v_fma_f32 v157, v9, v6, v157                               // 0000000077F8: D1CB009D 06760D09
	v_fma_f32 v158, v10, v6, v158                              // 000000007800: D1CB009E 067A0D0A
	v_fma_f32 v159, v11, v6, v159                              // 000000007808: D1CB009F 067E0D0B
	s_nop 5                                                    // 000000007810: BF800005
	v_fma_f32 v188, v12, v6, v188                              // 000000007814: D1CB00BC 06F20D0C
	v_fma_f32 v189, v13, v6, v189                              // 00000000781C: D1CB00BD 06F60D0D
	v_fma_f32 v190, v14, v6, v190                              // 000000007824: D1CB00BE 06FA0D0E
	v_fma_f32 v191, v15, v6, v191                              // 00000000782C: D1CB00BF 06FE0D0F
	s_addk_i32 s70, 0x80                                       // 000000007834: B7460080
	s_cmp_lt_i32 s70, s71                                      // 000000007838: BF044746
	s_cbranch_scc0 label_15DE                                  // 00000000783C: BF84020B
	s_waitcnt vmcnt(2) lgkmcnt(0)                              // 000000007840: BF8C0072
	s_barrier                                                  // 000000007844: BF8A0000
	v_mov_b32_e32 v48, v40                                     // 000000007848: 7E600328
	v_mov_b32_e32 v49, v41                                     // 00000000784C: 7E620329
	v_mov_b32_e32 v50, v42                                     // 000000007850: 7E64032A
	v_mov_b32_e32 v51, v43                                     // 000000007854: 7E66032B
	v_mov_b32_e32 v52, v44                                     // 000000007858: 7E68032C
	v_mov_b32_e32 v53, v45                                     // 00000000785C: 7E6A032D
	v_mov_b32_e32 v54, v46                                     // 000000007860: 7E6C032E
	v_mov_b32_e32 v55, v47                                     // 000000007864: 7E6E032F
	v_mul_f32_dpp v4, v20, v48 row_newbcast:0 row_mask:0xf bank_mask:0xf// 000000007868: 0A0860FA FF015014
	v_mfma_f32_16x16x128_f8f6f4 v[8:11], a[128:135], a[64:71], 0// 000000007870: D3AD0008 1A028180
	buffer_load_dword v23, v19, s[32:35], 0 offen              // 000000007878: E0501000 80081713
	buffer_load_dwordx4 a[144:147], v60, s[76:79], 0 offen     // 000000007880: E05C1000 8093903C
	v_mul_f32_dpp v6, v20, v49 row_newbcast:0 row_mask:0xf bank_mask:0xf// 000000007888: 0A0C62FA FF015014
	v_mfma_f32_16x16x128_f8f6f4 v[12:15], a[128:135], a[72:79], 0// 000000007890: D3AD000C 1A029180
	s_nop 5                                                    // 000000007898: BF800005
	v_fma_f32 v64, v8, v4, v64                                 // 00000000789C: D1CB0040 05020908
	v_fma_f32 v65, v9, v4, v65                                 // 0000000078A4: D1CB0041 05060909
	v_fma_f32 v66, v10, v4, v66                                // 0000000078AC: D1CB0042 050A090A
	v_fma_f32 v67, v11, v4, v67                                // 0000000078B4: D1CB0043 050E090B
	v_mul_f32_dpp v4, v20, v50 row_newbcast:0 row_mask:0xf bank_mask:0xf// 0000000078BC: 0A0864FA FF015014
	v_mfma_f32_16x16x128_f8f6f4 v[8:11], a[128:135], a[80:87], 0// 0000000078C4: D3AD0008 1A02A180
	buffer_load_dwordx4 a[148:151], v60, s[76:79], 0 offen offset:1024// 0000000078CC: E05C1400 8093943C
	s_nop 5                                                    // 0000000078D4: BF800005
	v_fma_f32 v68, v12, v6, v68                                // 0000000078D8: D1CB0044 05120D0C
	v_fma_f32 v69, v13, v6, v69                                // 0000000078E0: D1CB0045 05160D0D
	v_fma_f32 v70, v14, v6, v70                                // 0000000078E8: D1CB0046 051A0D0E
	v_fma_f32 v71, v15, v6, v71                                // 0000000078F0: D1CB0047 051E0D0F
	v_mul_f32_dpp v6, v20, v51 row_newbcast:0 row_mask:0xf bank_mask:0xf// 0000000078F8: 0A0C66FA FF015014
	v_mfma_f32_16x16x128_f8f6f4 v[12:15], a[128:135], a[88:95], 0// 000000007900: D3AD000C 1A02B180
	s_nop 5                                                    // 000000007908: BF800005
	v_fma_f32 v72, v8, v4, v72                                 // 00000000790C: D1CB0048 05220908
	v_fma_f32 v73, v9, v4, v73                                 // 000000007914: D1CB0049 05260909
	v_fma_f32 v74, v10, v4, v74                                // 00000000791C: D1CB004A 052A090A
	v_fma_f32 v75, v11, v4, v75                                // 000000007924: D1CB004B 052E090B
	v_mul_f32_dpp v4, v20, v52 row_newbcast:0 row_mask:0xf bank_mask:0xf// 00000000792C: 0A0868FA FF015014
	v_mfma_f32_16x16x128_f8f6f4 v[8:11], a[128:135], a[96:103], 0// 000000007934: D3AD0008 1A02C180
	buffer_load_dwordx4 a[152:155], v61, s[76:79], 0 offen     // 00000000793C: E05C1000 8093983D
	s_nop 5                                                    // 000000007944: BF800005
	v_fma_f32 v76, v12, v6, v76                                // 000000007948: D1CB004C 05320D0C
	v_fma_f32 v77, v13, v6, v77                                // 000000007950: D1CB004D 05360D0D
	v_fma_f32 v78, v14, v6, v78                                // 000000007958: D1CB004E 053A0D0E
	v_fma_f32 v79, v15, v6, v79                                // 000000007960: D1CB004F 053E0D0F
	v_mul_f32_dpp v6, v20, v53 row_newbcast:0 row_mask:0xf bank_mask:0xf// 000000007968: 0A0C6AFA FF015014
	v_mfma_f32_16x16x128_f8f6f4 v[12:15], a[128:135], a[104:111], 0// 000000007970: D3AD000C 1A02D180
	s_nop 5                                                    // 000000007978: BF800005
	v_fma_f32 v80, v8, v4, v80                                 // 00000000797C: D1CB0050 05420908
	v_fma_f32 v81, v9, v4, v81                                 // 000000007984: D1CB0051 05460909
	v_fma_f32 v82, v10, v4, v82                                // 00000000798C: D1CB0052 054A090A
	v_fma_f32 v83, v11, v4, v83                                // 000000007994: D1CB0053 054E090B
	v_mul_f32_dpp v4, v20, v54 row_newbcast:0 row_mask:0xf bank_mask:0xf// 00000000799C: 0A086CFA FF015014
	v_mfma_f32_16x16x128_f8f6f4 v[8:11], a[128:135], a[112:119], 0// 0000000079A4: D3AD0008 1A02E180
	buffer_load_dwordx4 a[156:159], v61, s[76:79], 0 offen offset:1024// 0000000079AC: E05C1400 80939C3D
	s_nop 5                                                    // 0000000079B4: BF800005
	v_fma_f32 v84, v12, v6, v84                                // 0000000079B8: D1CB0054 05520D0C
	v_fma_f32 v85, v13, v6, v85                                // 0000000079C0: D1CB0055 05560D0D
	v_fma_f32 v86, v14, v6, v86                                // 0000000079C8: D1CB0056 055A0D0E
	v_fma_f32 v87, v15, v6, v87                                // 0000000079D0: D1CB0057 055E0D0F
	v_mul_f32_dpp v6, v20, v55 row_newbcast:0 row_mask:0xf bank_mask:0xf// 0000000079D8: 0A0C6EFA FF015014
	v_mfma_f32_16x16x128_f8f6f4 v[12:15], a[128:135], a[120:127], 0// 0000000079E0: D3AD000C 1A02F180
	s_nop 5                                                    // 0000000079E8: BF800005
	v_fma_f32 v88, v8, v4, v88                                 // 0000000079EC: D1CB0058 05620908
	v_fma_f32 v89, v9, v4, v89                                 // 0000000079F4: D1CB0059 05660909
	v_fma_f32 v90, v10, v4, v90                                // 0000000079FC: D1CB005A 056A090A
	v_fma_f32 v91, v11, v4, v91                                // 000000007A04: D1CB005B 056E090B
	s_waitcnt vmcnt(5)                                         // 000000007A0C: BF8C0F75
	v_mul_f32_dpp v4, v20, v48 row_newbcast:0 row_mask:0xf bank_mask:0xf// 000000007A10: 0A0860FA FF015014
	v_mfma_f32_16x16x128_f8f6f4 v[8:11], a[136:143], a[64:71], 0// 000000007A18: D3AD0008 1A028188
	buffer_load_dwordx4 v56, s[20:23], 0 offen lds             // 000000007A20: E05D1000 80050038
	s_add_u32 m0, 0x400, s47                                   // 000000007A28: 807C2FFF 00000400
	s_nop 5                                                    // 000000007A30: BF800005
	v_fma_f32 v92, v12, v6, v92                                // 000000007A34: D1CB005C 05720D0C
	v_fma_f32 v93, v13, v6, v93                                // 000000007A3C: D1CB005D 05760D0D
	v_fma_f32 v94, v14, v6, v94                                // 000000007A44: D1CB005E 057A0D0E
	v_fma_f32 v95, v15, v6, v95                                // 000000007A4C: D1CB005F 057E0D0F
	v_mul_f32_dpp v6, v20, v49 row_newbcast:0 row_mask:0xf bank_mask:0xf// 000000007A54: 0A0C62FA FF015014
	v_mfma_f32_16x16x128_f8f6f4 v[12:15], a[136:143], a[72:79], 0// 000000007A5C: D3AD000C 1A029188
	s_nop 5                                                    // 000000007A64: BF800005
	v_fma_f32 v96, v8, v4, v96                                 // 000000007A68: D1CB0060 05820908
	v_fma_f32 v97, v9, v4, v97                                 // 000000007A70: D1CB0061 05860909
	v_fma_f32 v98, v10, v4, v98                                // 000000007A78: D1CB0062 058A090A
	v_fma_f32 v99, v11, v4, v99                                // 000000007A80: D1CB0063 058E090B
	v_mul_f32_dpp v4, v20, v50 row_newbcast:0 row_mask:0xf bank_mask:0xf// 000000007A88: 0A0864FA FF015014
	v_mfma_f32_16x16x128_f8f6f4 v[8:11], a[136:143], a[80:87], 0// 000000007A90: D3AD0008 1A02A188
	buffer_load_dwordx4 v57, s[20:23], 0 offen lds             // 000000007A98: E05D1000 80050039
	s_add_u32 m0, 0x800, s47                                   // 000000007AA0: 807C2FFF 00000800
	s_nop 5                                                    // 000000007AA8: BF800005
	v_fma_f32 v100, v12, v6, v100                              // 000000007AAC: D1CB0064 05920D0C
	v_fma_f32 v101, v13, v6, v101                              // 000000007AB4: D1CB0065 05960D0D
	v_fma_f32 v102, v14, v6, v102                              // 000000007ABC: D1CB0066 059A0D0E
	v_fma_f32 v103, v15, v6, v103                              // 000000007AC4: D1CB0067 059E0D0F
	v_mul_f32_dpp v6, v20, v51 row_newbcast:0 row_mask:0xf bank_mask:0xf// 000000007ACC: 0A0C66FA FF015014
	v_mfma_f32_16x16x128_f8f6f4 v[12:15], a[136:143], a[88:95], 0// 000000007AD4: D3AD000C 1A02B188
	s_nop 5                                                    // 000000007ADC: BF800005
	v_fma_f32 v104, v8, v4, v104                               // 000000007AE0: D1CB0068 05A20908
	v_fma_f32 v105, v9, v4, v105                               // 000000007AE8: D1CB0069 05A60909
	v_fma_f32 v106, v10, v4, v106                              // 000000007AF0: D1CB006A 05AA090A
	v_fma_f32 v107, v11, v4, v107                              // 000000007AF8: D1CB006B 05AE090B
	v_mul_f32_dpp v4, v20, v52 row_newbcast:0 row_mask:0xf bank_mask:0xf// 000000007B00: 0A0868FA FF015014
	v_mfma_f32_16x16x128_f8f6f4 v[8:11], a[136:143], a[96:103], 0// 000000007B08: D3AD0008 1A02C188
	buffer_load_dwordx4 v58, s[20:23], 0 offen lds             // 000000007B10: E05D1000 8005003A
	s_add_u32 m0, 0xc00, s47                                   // 000000007B18: 807C2FFF 00000C00
	s_nop 5                                                    // 000000007B20: BF800005
	v_fma_f32 v108, v12, v6, v108                              // 000000007B24: D1CB006C 05B20D0C
	v_fma_f32 v109, v13, v6, v109                              // 000000007B2C: D1CB006D 05B60D0D
	v_fma_f32 v110, v14, v6, v110                              // 000000007B34: D1CB006E 05BA0D0E
	v_fma_f32 v111, v15, v6, v111                              // 000000007B3C: D1CB006F 05BE0D0F
	v_mul_f32_dpp v6, v20, v53 row_newbcast:0 row_mask:0xf bank_mask:0xf// 000000007B44: 0A0C6AFA FF015014
	v_mfma_f32_16x16x128_f8f6f4 v[12:15], a[136:143], a[104:111], 0// 000000007B4C: D3AD000C 1A02D188
	s_nop 5                                                    // 000000007B54: BF800005
	v_fma_f32 v112, v8, v4, v112                               // 000000007B58: D1CB0070 05C20908
	v_fma_f32 v113, v9, v4, v113                               // 000000007B60: D1CB0071 05C60909
	v_fma_f32 v114, v10, v4, v114                              // 000000007B68: D1CB0072 05CA090A
	v_fma_f32 v115, v11, v4, v115                              // 000000007B70: D1CB0073 05CE090B
	v_mul_f32_dpp v4, v20, v54 row_newbcast:0 row_mask:0xf bank_mask:0xf// 000000007B78: 0A086CFA FF015014
	v_mfma_f32_16x16x128_f8f6f4 v[8:11], a[136:143], a[112:119], 0// 000000007B80: D3AD0008 1A02E188
	buffer_load_dwordx4 v59, s[20:23], 0 offen lds             // 000000007B88: E05D1000 8005003B
	s_add_u32 m0, 0, s46                                       // 000000007B90: 807C2E80
	s_add_u32 s52, 0x80, s70                                   // 000000007B94: 803446FF 00000080
	s_cmp_lt_u32 s52, s71                                      // 000000007B9C: BF0A4734
	s_cselect_b32 s73, s73, 0                                  // 000000007BA0: 85498049
	s_cselect_b32 s4, s4, 0                                    // 000000007BA4: 85048004
	s_nop 5                                                    // 000000007BA8: BF800005
	v_fma_f32 v116, v12, v6, v116                              // 000000007BAC: D1CB0074 05D20D0C
	v_fma_f32 v117, v13, v6, v117                              // 000000007BB4: D1CB0075 05D60D0D
	v_fma_f32 v118, v14, v6, v118                              // 000000007BBC: D1CB0076 05DA0D0E
	v_fma_f32 v119, v15, v6, v119                              // 000000007BC4: D1CB0077 05DE0D0F
	v_mul_f32_dpp v6, v20, v55 row_newbcast:0 row_mask:0xf bank_mask:0xf// 000000007BCC: 0A0C6EFA FF015014
	v_mfma_f32_16x16x128_f8f6f4 v[12:15], a[136:143], a[120:127], 0// 000000007BD4: D3AD000C 1A02F188
	s_add_u32 s32, s4, s32                                     // 000000007BDC: 80202004
	s_addc_u32 s33, 0, s33                                     // 000000007BE0: 82212180
	s_nop 5                                                    // 000000007BE4: BF800005
	v_fma_f32 v120, v8, v4, v120                               // 000000007BE8: D1CB0078 05E20908
	v_fma_f32 v121, v9, v4, v121                               // 000000007BF0: D1CB0079 05E60909
	v_fma_f32 v122, v10, v4, v122                              // 000000007BF8: D1CB007A 05EA090A
	v_fma_f32 v123, v11, v4, v123                              // 000000007C00: D1CB007B 05EE090B
	s_nop 5                                                    // 000000007C08: BF800005
	v_fma_f32 v124, v12, v6, v124                              // 000000007C0C: D1CB007C 05F20D0C
	v_fma_f32 v125, v13, v6, v125                              // 000000007C14: D1CB007D 05F60D0D
	v_fma_f32 v126, v14, v6, v126                              // 000000007C1C: D1CB007E 05FA0D0E
	v_fma_f32 v127, v15, v6, v127                              // 000000007C24: D1CB007F 05FE0D0F
	buffer_load_dword v40, v24, s[28:31], 0 offen              // 000000007C2C: E0501000 80072818
	buffer_load_dword v41, v25, s[28:31], 0 offen              // 000000007C34: E0501000 80072919
	buffer_load_dword v42, v26, s[28:31], 0 offen              // 000000007C3C: E0501000 80072A1A
	buffer_load_dword v43, v27, s[28:31], 0 offen              // 000000007C44: E0501000 80072B1B
	buffer_load_dword v44, v28, s[28:31], 0 offen              // 000000007C4C: E0501000 80072C1C
	buffer_load_dword v45, v29, s[28:31], 0 offen              // 000000007C54: E0501000 80072D1D
	buffer_load_dword v46, v30, s[28:31], 0 offen              // 000000007C5C: E0501000 80072E1E
	buffer_load_dword v47, v31, s[28:31], 0 offen              // 000000007C64: E0501000 80072F1F
	s_waitcnt vmcnt(12)                                        // 000000007C6C: BF8C0F7C
	v_mul_f32_dpp v4, v23, v48 row_newbcast:0 row_mask:0xf bank_mask:0xf// 000000007C70: 0A0860FA FF015017
	v_mfma_f32_16x16x128_f8f6f4 v[8:11], a[144:151], a[64:71], 0// 000000007C78: D3AD0008 1A028190
	buffer_load_dword v20, v18, s[32:35], 0 offen              // 000000007C80: E0501000 80081412
	buffer_load_dwordx4 a[128:131], v60, s[24:27], 0 offen     // 000000007C88: E05C1000 8086803C
	v_mfma_f32_16x16x128_f8f6f4 v[12:15], a[152:159], a[64:71], 0// 000000007C90: D3AD000C 1A028198
	ds_read_b128 a[0:3], v2                                    // 000000007C98: DBFE0000 00000002
	ds_read_b128 a[4:7], v2 offset:64                          // 000000007CA0: DBFE0040 04000002
	s_nop 5                                                    // 000000007CA8: BF800005
	v_fma_f32 v128, v8, v4, v128                               // 000000007CAC: D1CB0080 06020908
	v_fma_f32 v129, v9, v4, v129                               // 000000007CB4: D1CB0081 06060909
	v_fma_f32 v130, v10, v4, v130                              // 000000007CBC: D1CB0082 060A090A
	v_fma_f32 v131, v11, v4, v131                              // 000000007CC4: D1CB0083 060E090B
	v_mul_f32_dpp v6, v23, v49 row_newbcast:0 row_mask:0xf bank_mask:0xf// 000000007CCC: 0A0C62FA FF015017
	v_mfma_f32_16x16x128_f8f6f4 v[8:11], a[144:151], a[72:79], 0// 000000007CD4: D3AD0008 1A029190
	buffer_load_dwordx4 a[132:135], v60, s[24:27], 0 offen offset:1024// 000000007CDC: E05C1400 8086843C
	s_nop 5                                                    // 000000007CE4: BF800005
	v_fma_f32 v160, v12, v4, v160                              // 000000007CE8: D1CB00A0 0682090C
	v_fma_f32 v161, v13, v4, v161                              // 000000007CF0: D1CB00A1 0686090D
	v_fma_f32 v162, v14, v4, v162                              // 000000007CF8: D1CB00A2 068A090E
	v_fma_f32 v163, v15, v4, v163                              // 000000007D00: D1CB00A3 068E090F
	v_mfma_f32_16x16x128_f8f6f4 v[12:15], a[152:159], a[72:79], 0// 000000007D08: D3AD000C 1A029198
	ds_read_b128 a[8:11], v2 offset:512                        // 000000007D10: DBFE0200 08000002
	ds_read_b128 a[12:15], v2 offset:576                       // 000000007D18: DBFE0240 0C000002
	s_nop 5                                                    // 000000007D20: BF800005
	v_fma_f32 v132, v8, v6, v132                               // 000000007D24: D1CB0084 06120D08
	v_fma_f32 v133, v9, v6, v133                               // 000000007D2C: D1CB0085 06160D09
	v_fma_f32 v134, v10, v6, v134                              // 000000007D34: D1CB0086 061A0D0A
	v_fma_f32 v135, v11, v6, v135                              // 000000007D3C: D1CB0087 061E0D0B
	v_mul_f32_dpp v4, v23, v50 row_newbcast:0 row_mask:0xf bank_mask:0xf// 000000007D44: 0A0864FA FF015017
	v_mfma_f32_16x16x128_f8f6f4 v[8:11], a[144:151], a[80:87], 0// 000000007D4C: D3AD0008 1A02A190
	buffer_load_dwordx4 a[136:139], v61, s[24:27], 0 offen     // 000000007D54: E05C1000 8086883D
	s_nop 5                                                    // 000000007D5C: BF800005
	v_fma_f32 v164, v12, v6, v164                              // 000000007D60: D1CB00A4 06920D0C
	v_fma_f32 v165, v13, v6, v165                              // 000000007D68: D1CB00A5 06960D0D
	v_fma_f32 v166, v14, v6, v166                              // 000000007D70: D1CB00A6 069A0D0E
	v_fma_f32 v167, v15, v6, v167                              // 000000007D78: D1CB00A7 069E0D0F
	v_mfma_f32_16x16x128_f8f6f4 v[12:15], a[152:159], a[80:87], 0// 000000007D80: D3AD000C 1A02A198
	ds_read_b128 a[16:19], v2 offset:1024                      // 000000007D88: DBFE0400 10000002
	ds_read_b128 a[20:23], v2 offset:1088                      // 000000007D90: DBFE0440 14000002
	s_nop 5                                                    // 000000007D98: BF800005
	v_fma_f32 v136, v8, v4, v136                               // 000000007D9C: D1CB0088 06220908
	v_fma_f32 v137, v9, v4, v137                               // 000000007DA4: D1CB0089 06260909
	v_fma_f32 v138, v10, v4, v138                              // 000000007DAC: D1CB008A 062A090A
	v_fma_f32 v139, v11, v4, v139                              // 000000007DB4: D1CB008B 062E090B
	v_mul_f32_dpp v6, v23, v51 row_newbcast:0 row_mask:0xf bank_mask:0xf// 000000007DBC: 0A0C66FA FF015017
	v_mfma_f32_16x16x128_f8f6f4 v[8:11], a[144:151], a[88:95], 0// 000000007DC4: D3AD0008 1A02B190
	buffer_load_dwordx4 a[140:143], v61, s[24:27], 0 offen offset:1024// 000000007DCC: E05C1400 80868C3D
	s_nop 5                                                    // 000000007DD4: BF800005
	v_fma_f32 v168, v12, v4, v168                              // 000000007DD8: D1CB00A8 06A2090C
	v_fma_f32 v169, v13, v4, v169                              // 000000007DE0: D1CB00A9 06A6090D
	v_fma_f32 v170, v14, v4, v170                              // 000000007DE8: D1CB00AA 06AA090E
	v_fma_f32 v171, v15, v4, v171                              // 000000007DF0: D1CB00AB 06AE090F
	v_mfma_f32_16x16x128_f8f6f4 v[12:15], a[152:159], a[88:95], 0// 000000007DF8: D3AD000C 1A02B198
	ds_read_b128 a[24:27], v2 offset:1536                      // 000000007E00: DBFE0600 18000002
	ds_read_b128 a[28:31], v2 offset:1600                      // 000000007E08: DBFE0640 1C000002
	s_nop 5                                                    // 000000007E10: BF800005
	v_fma_f32 v140, v8, v6, v140                               // 000000007E14: D1CB008C 06320D08
	v_fma_f32 v141, v9, v6, v141                               // 000000007E1C: D1CB008D 06360D09
	v_fma_f32 v142, v10, v6, v142                              // 000000007E24: D1CB008E 063A0D0A
	v_fma_f32 v143, v11, v6, v143                              // 000000007E2C: D1CB008F 063E0D0B
	v_mul_f32_dpp v4, v23, v52 row_newbcast:0 row_mask:0xf bank_mask:0xf// 000000007E34: 0A0868FA FF015017
	v_mfma_f32_16x16x128_f8f6f4 v[8:11], a[144:151], a[96:103], 0// 000000007E3C: D3AD0008 1A02C190
	s_nop 5                                                    // 000000007E44: BF800005
	v_fma_f32 v172, v12, v6, v172                              // 000000007E48: D1CB00AC 06B20D0C
	v_fma_f32 v173, v13, v6, v173                              // 000000007E50: D1CB00AD 06B60D0D
	v_fma_f32 v174, v14, v6, v174                              // 000000007E58: D1CB00AE 06BA0D0E
	v_fma_f32 v175, v15, v6, v175                              // 000000007E60: D1CB00AF 06BE0D0F
	v_mfma_f32_16x16x128_f8f6f4 v[12:15], a[152:159], a[96:103], 0// 000000007E68: D3AD000C 1A02C198
	ds_read_b128 a[32:35], v2 offset:2048                      // 000000007E70: DBFE0800 20000002
	ds_read_b128 a[36:39], v2 offset:2112                      // 000000007E78: DBFE0840 24000002
	s_nop 5                                                    // 000000007E80: BF800005
	v_fma_f32 v144, v8, v4, v144                               // 000000007E84: D1CB0090 06420908
	v_fma_f32 v145, v9, v4, v145                               // 000000007E8C: D1CB0091 06460909
	v_fma_f32 v146, v10, v4, v146                              // 000000007E94: D1CB0092 064A090A
	v_fma_f32 v147, v11, v4, v147                              // 000000007E9C: D1CB0093 064E090B
	v_mul_f32_dpp v6, v23, v53 row_newbcast:0 row_mask:0xf bank_mask:0xf// 000000007EA4: 0A0C6AFA FF015017
	v_mfma_f32_16x16x128_f8f6f4 v[8:11], a[144:151], a[104:111], 0// 000000007EAC: D3AD0008 1A02D190
	s_nop 5                                                    // 000000007EB4: BF800005
	v_fma_f32 v176, v12, v4, v176                              // 000000007EB8: D1CB00B0 06C2090C
	v_fma_f32 v177, v13, v4, v177                              // 000000007EC0: D1CB00B1 06C6090D
	v_fma_f32 v178, v14, v4, v178                              // 000000007EC8: D1CB00B2 06CA090E
	v_fma_f32 v179, v15, v4, v179                              // 000000007ED0: D1CB00B3 06CE090F
	v_mfma_f32_16x16x128_f8f6f4 v[12:15], a[152:159], a[104:111], 0// 000000007ED8: D3AD000C 1A02D198
	ds_read_b128 a[40:43], v2 offset:2560                      // 000000007EE0: DBFE0A00 28000002
	ds_read_b128 a[44:47], v2 offset:2624                      // 000000007EE8: DBFE0A40 2C000002
	s_add_u32 s52, 0x100, s70                                  // 000000007EF0: 803446FF 00000100
	s_cmp_lt_u32 s52, s71                                      // 000000007EF8: BF0A4734
	s_cselect_b32 s58, s58, 0                                  // 000000007EFC: 853A803A
	s_nop 5                                                    // 000000007F00: BF800005
	v_fma_f32 v148, v8, v6, v148                               // 000000007F04: D1CB0094 06520D08
	v_fma_f32 v149, v9, v6, v149                               // 000000007F0C: D1CB0095 06560D09
	v_fma_f32 v150, v10, v6, v150                              // 000000007F14: D1CB0096 065A0D0A
	v_fma_f32 v151, v11, v6, v151                              // 000000007F1C: D1CB0097 065E0D0B
	v_mul_f32_dpp v4, v23, v54 row_newbcast:0 row_mask:0xf bank_mask:0xf// 000000007F24: 0A086CFA FF015017
	v_mfma_f32_16x16x128_f8f6f4 v[8:11], a[144:151], a[112:119], 0// 000000007F2C: D3AD0008 1A02E190
	s_add_u32 s76, s73, s24                                    // 000000007F34: 804C1849
	s_addc_u32 s77, 0, s77                                     // 000000007F38: 824D4D80
	s_nop 5                                                    // 000000007F3C: BF800005
	v_fma_f32 v180, v12, v6, v180                              // 000000007F40: D1CB00B4 06D20D0C
	v_fma_f32 v181, v13, v6, v181                              // 000000007F48: D1CB00B5 06D60D0D
	v_fma_f32 v182, v14, v6, v182                              // 000000007F50: D1CB00B6 06DA0D0E
	v_fma_f32 v183, v15, v6, v183                              // 000000007F58: D1CB00B7 06DE0D0F
	v_mfma_f32_16x16x128_f8f6f4 v[12:15], a[152:159], a[112:119], 0// 000000007F60: D3AD000C 1A02E198
	ds_read_b128 a[48:51], v2 offset:3072                      // 000000007F68: DBFE0C00 30000002
	ds_read_b128 a[52:55], v2 offset:3136                      // 000000007F70: DBFE0C40 34000002
	s_add_u32 s52, 0x180, s70                                  // 000000007F78: 803446FF 00000180
	s_cmp_lt_u32 s52, s71                                      // 000000007F80: BF0A4734
	s_cselect_b32 s57, s57, 0                                  // 000000007F84: 85398039
	s_cselect_b32 s6, s6, 0                                    // 000000007F88: 85068006
	s_nop 5                                                    // 000000007F8C: BF800005
	v_fma_f32 v152, v8, v4, v152                               // 000000007F90: D1CB0098 06620908
	v_fma_f32 v153, v9, v4, v153                               // 000000007F98: D1CB0099 06660909
	v_fma_f32 v154, v10, v4, v154                              // 000000007FA0: D1CB009A 066A090A
	v_fma_f32 v155, v11, v4, v155                              // 000000007FA8: D1CB009B 066E090B
	v_mul_f32_dpp v6, v23, v55 row_newbcast:0 row_mask:0xf bank_mask:0xf// 000000007FB0: 0A0C6EFA FF015017
	v_mfma_f32_16x16x128_f8f6f4 v[8:11], a[144:151], a[120:127], 0// 000000007FB8: D3AD0008 1A02F190
	s_add_u32 s20, s57, s20                                    // 000000007FC0: 80141439
	s_addc_u32 s21, 0, s21                                     // 000000007FC4: 82151580
	s_add_u32 s28, s6, s28                                     // 000000007FC8: 801C1C06
	s_addc_u32 s29, 0, s29                                     // 000000007FCC: 821D1D80
	s_nop 5                                                    // 000000007FD0: BF800005
	v_fma_f32 v184, v12, v4, v184                              // 000000007FD4: D1CB00B8 06E2090C
	v_fma_f32 v185, v13, v4, v185                              // 000000007FDC: D1CB00B9 06E6090D
	v_fma_f32 v186, v14, v4, v186                              // 000000007FE4: D1CB00BA 06EA090E
	v_fma_f32 v187, v15, v4, v187                              // 000000007FEC: D1CB00BB 06EE090F
	v_mfma_f32_16x16x128_f8f6f4 v[12:15], a[152:159], a[120:127], 0// 000000007FF4: D3AD000C 1A02F198
	ds_read_b128 a[56:59], v2 offset:3584                      // 000000007FFC: DBFE0E00 38000002
	ds_read_b128 a[60:63], v2 offset:3648                      // 000000008004: DBFE0E40 3C000002
	s_add_u32 s24, s58, s24                                    // 00000000800C: 8018183A
	s_addc_u32 s25, 0, s25                                     // 000000008010: 82191980
	s_nop 5                                                    // 000000008014: BF800005
	v_fma_f32 v156, v8, v6, v156                               // 000000008018: D1CB009C 06720D08
	v_fma_f32 v157, v9, v6, v157                               // 000000008020: D1CB009D 06760D09
	v_fma_f32 v158, v10, v6, v158                              // 000000008028: D1CB009E 067A0D0A
	v_fma_f32 v159, v11, v6, v159                              // 000000008030: D1CB009F 067E0D0B
	s_nop 5                                                    // 000000008038: BF800005
	v_fma_f32 v188, v12, v6, v188                              // 00000000803C: D1CB00BC 06F20D0C
	v_fma_f32 v189, v13, v6, v189                              // 000000008044: D1CB00BD 06F60D0D
	v_fma_f32 v190, v14, v6, v190                              // 00000000804C: D1CB00BE 06FA0D0E
	v_fma_f32 v191, v15, v6, v191                              // 000000008054: D1CB00BF 06FE0D0F
	s_addk_i32 s70, 0x80                                       // 00000000805C: B7460080
	s_cmp_lt_i32 s70, s71                                      // 000000008060: BF044746
	s_cbranch_scc0 label_15DE                                  // 000000008064: BF840001
	s_branch label_11C9                                        // 000000008068: BF82FBEB

000000000000806c <label_15DE>:
	s_cmp_eq_u32 s74, 0                                        // 00000000806C: BF06804A
	s_cbranch_scc0 label_1A08                                  // 000000008070: BF840428
	v_cvt_pk_bf16_f32 v64, v64, v65                            // 000000008074: D2680040 00028340
	v_cvt_pk_bf16_f32 v65, v66, v67                            // 00000000807C: D2680041 00028742
	v_cvt_pk_bf16_f32 v66, v68, v69                            // 000000008084: D2680042 00028B44
	v_cvt_pk_bf16_f32 v67, v70, v71                            // 00000000808C: D2680043 00028F46
	v_cvt_pk_bf16_f32 v68, v72, v73                            // 000000008094: D2680044 00029348
	v_cvt_pk_bf16_f32 v69, v74, v75                            // 00000000809C: D2680045 0002974A
	v_cvt_pk_bf16_f32 v70, v76, v77                            // 0000000080A4: D2680046 00029B4C
	v_cvt_pk_bf16_f32 v71, v78, v79                            // 0000000080AC: D2680047 00029F4E
	v_cvt_pk_bf16_f32 v72, v80, v81                            // 0000000080B4: D2680048 0002A350
	v_cvt_pk_bf16_f32 v73, v82, v83                            // 0000000080BC: D2680049 0002A752
	v_cvt_pk_bf16_f32 v74, v84, v85                            // 0000000080C4: D268004A 0002AB54
	v_cvt_pk_bf16_f32 v75, v86, v87                            // 0000000080CC: D268004B 0002AF56
	v_cvt_pk_bf16_f32 v76, v88, v89                            // 0000000080D4: D268004C 0002B358
	v_cvt_pk_bf16_f32 v77, v90, v91                            // 0000000080DC: D268004D 0002B75A
	v_cvt_pk_bf16_f32 v78, v92, v93                            // 0000000080E4: D268004E 0002BB5C
	v_cvt_pk_bf16_f32 v79, v94, v95                            // 0000000080EC: D268004F 0002BF5E
	v_cvt_pk_bf16_f32 v80, v96, v97                            // 0000000080F4: D2680050 0002C360
	v_cvt_pk_bf16_f32 v81, v98, v99                            // 0000000080FC: D2680051 0002C762
	v_cvt_pk_bf16_f32 v82, v100, v101                          // 000000008104: D2680052 0002CB64
	v_cvt_pk_bf16_f32 v83, v102, v103                          // 00000000810C: D2680053 0002CF66
	v_cvt_pk_bf16_f32 v84, v104, v105                          // 000000008114: D2680054 0002D368
	v_cvt_pk_bf16_f32 v85, v106, v107                          // 00000000811C: D2680055 0002D76A
	v_cvt_pk_bf16_f32 v86, v108, v109                          // 000000008124: D2680056 0002DB6C
	v_cvt_pk_bf16_f32 v87, v110, v111                          // 00000000812C: D2680057 0002DF6E
	v_cvt_pk_bf16_f32 v88, v112, v113                          // 000000008134: D2680058 0002E370
	v_cvt_pk_bf16_f32 v89, v114, v115                          // 00000000813C: D2680059 0002E772
	v_cvt_pk_bf16_f32 v90, v116, v117                          // 000000008144: D268005A 0002EB74
	v_cvt_pk_bf16_f32 v91, v118, v119                          // 00000000814C: D268005B 0002EF76
	v_cvt_pk_bf16_f32 v92, v120, v121                          // 000000008154: D268005C 0002F378
	v_cvt_pk_bf16_f32 v93, v122, v123                          // 00000000815C: D268005D 0002F77A
	v_cvt_pk_bf16_f32 v94, v124, v125                          // 000000008164: D268005E 0002FB7C
	v_cvt_pk_bf16_f32 v95, v126, v127                          // 00000000816C: D268005F 0002FF7E
	ds_write_b64 v16, v[64:65]                                 // 000000008174: D89A0000 00004010
	ds_write_b64 v16, v[66:67] offset:4352                     // 00000000817C: D89A1100 00004210
	ds_write_b64 v16, v[68:69] offset:8704                     // 000000008184: D89A2200 00004410
	ds_write_b64 v16, v[70:71] offset:13056                    // 00000000818C: D89A3300 00004610
	ds_write_b64 v16, v[72:73] offset:17408                    // 000000008194: D89A4400 00004810
	ds_write_b64 v16, v[74:75] offset:21760                    // 00000000819C: D89A5500 00004A10
	ds_write_b64 v16, v[76:77] offset:26112                    // 0000000081A4: D89A6600 00004C10
	ds_write_b64 v16, v[78:79] offset:30464                    // 0000000081AC: D89A7700 00004E10
	ds_write_b64 v16, v[80:81] offset:2176                     // 0000000081B4: D89A0880 00005010
	ds_write_b64 v16, v[82:83] offset:6528                     // 0000000081BC: D89A1980 00005210
	ds_write_b64 v16, v[84:85] offset:10880                    // 0000000081C4: D89A2A80 00005410
	ds_write_b64 v16, v[86:87] offset:15232                    // 0000000081CC: D89A3B80 00005610
	ds_write_b64 v16, v[88:89] offset:19584                    // 0000000081D4: D89A4C80 00005810
	ds_write_b64 v16, v[90:91] offset:23936                    // 0000000081DC: D89A5D80 00005A10
	ds_write_b64 v16, v[92:93] offset:28288                    // 0000000081E4: D89A6E80 00005C10
	ds_write_b64 v16, v[94:95] offset:32640                    // 0000000081EC: D89A7F80 00005E10
	v_cvt_pk_bf16_f32 v128, v128, v129                         // 0000000081F4: D2680080 00030380
	v_cvt_pk_bf16_f32 v129, v130, v131                         // 0000000081FC: D2680081 00030782
	v_cvt_pk_bf16_f32 v130, v132, v133                         // 000000008204: D2680082 00030B84
	v_cvt_pk_bf16_f32 v131, v134, v135                         // 00000000820C: D2680083 00030F86
	v_cvt_pk_bf16_f32 v132, v136, v137                         // 000000008214: D2680084 00031388
	v_cvt_pk_bf16_f32 v133, v138, v139                         // 00000000821C: D2680085 0003178A
	v_cvt_pk_bf16_f32 v134, v140, v141                         // 000000008224: D2680086 00031B8C
	v_cvt_pk_bf16_f32 v135, v142, v143                         // 00000000822C: D2680087 00031F8E
	v_cvt_pk_bf16_f32 v136, v144, v145                         // 000000008234: D2680088 00032390
	v_cvt_pk_bf16_f32 v137, v146, v147                         // 00000000823C: D2680089 00032792
	v_cvt_pk_bf16_f32 v138, v148, v149                         // 000000008244: D268008A 00032B94
	v_cvt_pk_bf16_f32 v139, v150, v151                         // 00000000824C: D268008B 00032F96
	v_cvt_pk_bf16_f32 v140, v152, v153                         // 000000008254: D268008C 00033398
	v_cvt_pk_bf16_f32 v141, v154, v155                         // 00000000825C: D268008D 0003379A
	v_cvt_pk_bf16_f32 v142, v156, v157                         // 000000008264: D268008E 00033B9C
	v_cvt_pk_bf16_f32 v143, v158, v159                         // 00000000826C: D268008F 00033F9E
	v_cvt_pk_bf16_f32 v144, v160, v161                         // 000000008274: D2680090 000343A0
	v_cvt_pk_bf16_f32 v145, v162, v163                         // 00000000827C: D2680091 000347A2
	v_cvt_pk_bf16_f32 v146, v164, v165                         // 000000008284: D2680092 00034BA4
	v_cvt_pk_bf16_f32 v147, v166, v167                         // 00000000828C: D2680093 00034FA6
	v_cvt_pk_bf16_f32 v148, v168, v169                         // 000000008294: D2680094 000353A8
	v_cvt_pk_bf16_f32 v149, v170, v171                         // 00000000829C: D2680095 000357AA
	v_cvt_pk_bf16_f32 v150, v172, v173                         // 0000000082A4: D2680096 00035BAC
	v_cvt_pk_bf16_f32 v151, v174, v175                         // 0000000082AC: D2680097 00035FAE
	v_cvt_pk_bf16_f32 v152, v176, v177                         // 0000000082B4: D2680098 000363B0
	v_cvt_pk_bf16_f32 v153, v178, v179                         // 0000000082BC: D2680099 000367B2
	v_cvt_pk_bf16_f32 v154, v180, v181                         // 0000000082C4: D268009A 00036BB4
	v_cvt_pk_bf16_f32 v155, v182, v183                         // 0000000082CC: D268009B 00036FB6
	v_cvt_pk_bf16_f32 v156, v184, v185                         // 0000000082D4: D268009C 000373B8
	v_cvt_pk_bf16_f32 v157, v186, v187                         // 0000000082DC: D268009D 000377BA
	v_cvt_pk_bf16_f32 v158, v188, v189                         // 0000000082E4: D268009E 00037BBC
	v_cvt_pk_bf16_f32 v159, v190, v191                         // 0000000082EC: D268009F 00037FBE
	v_lshrrev_b32_e32 v4, 5, v0                                // 0000000082F4: 20080085
	v_xor_b32_e32 v5, 1, v4                                    // 0000000082F8: 2A0A0881
	s_mul_i32 s52, s61, 2                                      // 0000000082FC: 9234823D
	s_cmp_eq_u32 s74, 0                                        // 000000008300: BF06804A
	s_cselect_b32 s53, 1, 4                                    // 000000008304: 85358481
	s_mul_i32 s52, s53, s52                                    // 000000008308: 92343435
	v_readlane_b32 s72, v3, 0                                  // 00000000830C: D2890048 00010103
	s_mul_i32 s72, s72, s66                                    // 000000008314: 92484248
	v_mul_lo_u32 v6, v5, s72                                   // 000000008318: D2850006 00009105
	v_readlane_b32 s72, v3, 1                                  // 000000008320: D2890048 00010303
	s_mul_i32 s72, s72, s66                                    // 000000008328: 92484248
	v_mul_lo_u32 v7, v4, s72                                   // 00000000832C: D2850007 00009104
	v_add_u32_e32 v96, v6, v7                                  // 000000008334: 68C00F06
	v_readlane_b32 s72, v3, 2                                  // 000000008338: D2890048 00010503
	s_mul_i32 s72, s72, s66                                    // 000000008340: 92484248
	v_mul_lo_u32 v6, v5, s72                                   // 000000008344: D2850006 00009105
	v_readlane_b32 s72, v3, 3                                  // 00000000834C: D2890048 00010703
	s_mul_i32 s72, s72, s66                                    // 000000008354: 92484248
	v_mul_lo_u32 v7, v4, s72                                   // 000000008358: D2850007 00009104
	v_add_u32_e32 v97, v6, v7                                  // 000000008360: 68C20F06
	v_readlane_b32 s72, v3, 4                                  // 000000008364: D2890048 00010903
	s_mul_i32 s72, s72, s66                                    // 00000000836C: 92484248
	v_mul_lo_u32 v6, v5, s72                                   // 000000008370: D2850006 00009105
	v_readlane_b32 s72, v3, 5                                  // 000000008378: D2890048 00010B03
	s_mul_i32 s72, s72, s66                                    // 000000008380: 92484248
	v_mul_lo_u32 v7, v4, s72                                   // 000000008384: D2850007 00009104
	v_add_u32_e32 v98, v6, v7                                  // 00000000838C: 68C40F06
	v_readlane_b32 s72, v3, 6                                  // 000000008390: D2890048 00010D03
	s_mul_i32 s72, s72, s66                                    // 000000008398: 92484248
	v_mul_lo_u32 v6, v5, s72                                   // 00000000839C: D2850006 00009105
	v_readlane_b32 s72, v3, 7                                  // 0000000083A4: D2890048 00010F03
	s_mul_i32 s72, s72, s66                                    // 0000000083AC: 92484248
	v_mul_lo_u32 v7, v4, s72                                   // 0000000083B0: D2850007 00009104
	v_add_u32_e32 v99, v6, v7                                  // 0000000083B8: 68C60F06
	v_readlane_b32 s72, v3, 8                                  // 0000000083BC: D2890048 00011103
	s_mul_i32 s72, s72, s66                                    // 0000000083C4: 92484248
	v_mul_lo_u32 v6, v5, s72                                   // 0000000083C8: D2850006 00009105
	v_readlane_b32 s72, v3, 9                                  // 0000000083D0: D2890048 00011303
	s_mul_i32 s72, s72, s66                                    // 0000000083D8: 92484248
	v_mul_lo_u32 v7, v4, s72                                   // 0000000083DC: D2850007 00009104
	v_add_u32_e32 v100, v6, v7                                 // 0000000083E4: 68C80F06
	v_readlane_b32 s72, v3, 10                                 // 0000000083E8: D2890048 00011503
	s_mul_i32 s72, s72, s66                                    // 0000000083F0: 92484248
	v_mul_lo_u32 v6, v5, s72                                   // 0000000083F4: D2850006 00009105
	v_readlane_b32 s72, v3, 11                                 // 0000000083FC: D2890048 00011703
	s_mul_i32 s72, s72, s66                                    // 000000008404: 92484248
	v_mul_lo_u32 v7, v4, s72                                   // 000000008408: D2850007 00009104
	v_add_u32_e32 v101, v6, v7                                 // 000000008410: 68CA0F06
	v_readlane_b32 s72, v3, 12                                 // 000000008414: D2890048 00011903
	s_mul_i32 s72, s72, s66                                    // 00000000841C: 92484248
	v_mul_lo_u32 v6, v5, s72                                   // 000000008420: D2850006 00009105
	v_readlane_b32 s72, v3, 13                                 // 000000008428: D2890048 00011B03
	s_mul_i32 s72, s72, s66                                    // 000000008430: 92484248
	v_mul_lo_u32 v7, v4, s72                                   // 000000008434: D2850007 00009104
	v_add_u32_e32 v102, v6, v7                                 // 00000000843C: 68CC0F06
	v_readlane_b32 s72, v3, 14                                 // 000000008440: D2890048 00011D03
	s_mul_i32 s72, s72, s66                                    // 000000008448: 92484248
	v_mul_lo_u32 v6, v5, s72                                   // 00000000844C: D2850006 00009105
	v_readlane_b32 s72, v3, 15                                 // 000000008454: D2890048 00011F03
	s_mul_i32 s72, s72, s66                                    // 00000000845C: 92484248
	v_mul_lo_u32 v7, v4, s72                                   // 000000008460: D2850007 00009104
	v_add_u32_e32 v103, v6, v7                                 // 000000008468: 68CE0F06
	v_readlane_b32 s72, v3, 16                                 // 00000000846C: D2890048 00012103
	s_mul_i32 s72, s72, s66                                    // 000000008474: 92484248
	v_mul_lo_u32 v6, v5, s72                                   // 000000008478: D2850006 00009105
	v_readlane_b32 s72, v3, 17                                 // 000000008480: D2890048 00012303
	s_mul_i32 s72, s72, s66                                    // 000000008488: 92484248
	v_mul_lo_u32 v7, v4, s72                                   // 00000000848C: D2850007 00009104
	v_add_u32_e32 v104, v6, v7                                 // 000000008494: 68D00F06
	v_readlane_b32 s72, v3, 18                                 // 000000008498: D2890048 00012503
	s_mul_i32 s72, s72, s66                                    // 0000000084A0: 92484248
	v_mul_lo_u32 v6, v5, s72                                   // 0000000084A4: D2850006 00009105
	v_readlane_b32 s72, v3, 19                                 // 0000000084AC: D2890048 00012703
	s_mul_i32 s72, s72, s66                                    // 0000000084B4: 92484248
	v_mul_lo_u32 v7, v4, s72                                   // 0000000084B8: D2850007 00009104
	v_add_u32_e32 v105, v6, v7                                 // 0000000084C0: 68D20F06
	v_readlane_b32 s72, v3, 20                                 // 0000000084C4: D2890048 00012903
	s_mul_i32 s72, s72, s66                                    // 0000000084CC: 92484248
	v_mul_lo_u32 v6, v5, s72                                   // 0000000084D0: D2850006 00009105
	v_readlane_b32 s72, v3, 21                                 // 0000000084D8: D2890048 00012B03
	s_mul_i32 s72, s72, s66                                    // 0000000084E0: 92484248
	v_mul_lo_u32 v7, v4, s72                                   // 0000000084E4: D2850007 00009104
	v_add_u32_e32 v106, v6, v7                                 // 0000000084EC: 68D40F06
	v_readlane_b32 s72, v3, 22                                 // 0000000084F0: D2890048 00012D03
	s_mul_i32 s72, s72, s66                                    // 0000000084F8: 92484248
	v_mul_lo_u32 v6, v5, s72                                   // 0000000084FC: D2850006 00009105
	v_readlane_b32 s72, v3, 23                                 // 000000008504: D2890048 00012F03
	s_mul_i32 s72, s72, s66                                    // 00000000850C: 92484248
	v_mul_lo_u32 v7, v4, s72                                   // 000000008510: D2850007 00009104
	v_add_u32_e32 v107, v6, v7                                 // 000000008518: 68D60F06
	v_readlane_b32 s72, v3, 24                                 // 00000000851C: D2890048 00013103
	s_mul_i32 s72, s72, s66                                    // 000000008524: 92484248
	v_mul_lo_u32 v6, v5, s72                                   // 000000008528: D2850006 00009105
	v_readlane_b32 s72, v3, 25                                 // 000000008530: D2890048 00013303
	s_mul_i32 s72, s72, s66                                    // 000000008538: 92484248
	v_mul_lo_u32 v7, v4, s72                                   // 00000000853C: D2850007 00009104
	v_add_u32_e32 v108, v6, v7                                 // 000000008544: 68D80F06
	v_readlane_b32 s72, v3, 26                                 // 000000008548: D2890048 00013503
	s_mul_i32 s72, s72, s66                                    // 000000008550: 92484248
	v_mul_lo_u32 v6, v5, s72                                   // 000000008554: D2850006 00009105
	v_readlane_b32 s72, v3, 27                                 // 00000000855C: D2890048 00013703
	s_mul_i32 s72, s72, s66                                    // 000000008564: 92484248
	v_mul_lo_u32 v7, v4, s72                                   // 000000008568: D2850007 00009104
	v_add_u32_e32 v109, v6, v7                                 // 000000008570: 68DA0F06
	v_readlane_b32 s72, v3, 28                                 // 000000008574: D2890048 00013903
	s_mul_i32 s72, s72, s66                                    // 00000000857C: 92484248
	v_mul_lo_u32 v6, v5, s72                                   // 000000008580: D2850006 00009105
	v_readlane_b32 s72, v3, 29                                 // 000000008588: D2890048 00013B03
	s_mul_i32 s72, s72, s66                                    // 000000008590: 92484248
	v_mul_lo_u32 v7, v4, s72                                   // 000000008594: D2850007 00009104
	v_add_u32_e32 v110, v6, v7                                 // 00000000859C: 68DC0F06
	v_readlane_b32 s72, v3, 30                                 // 0000000085A0: D2890048 00013D03
	s_mul_i32 s72, s72, s66                                    // 0000000085A8: 92484248
	v_mul_lo_u32 v6, v5, s72                                   // 0000000085AC: D2850006 00009105
	v_readlane_b32 s72, v3, 31                                 // 0000000085B4: D2890048 00013F03
	s_mul_i32 s72, s72, s66                                    // 0000000085BC: 92484248
	v_mul_lo_u32 v7, v4, s72                                   // 0000000085C0: D2850007 00009104
	v_add_u32_e32 v111, v6, v7                                 // 0000000085C8: 68DE0F06
	v_and_b32_e32 v4, 31, v0                                   // 0000000085CC: 2608009F
	v_lshrrev_b32_e32 v4, 1, v4                                // 0000000085D0: 20080881
	s_cmp_eq_u32 s74, 0                                        // 0000000085D4: BF06804A
	s_cselect_b32 s53, 2, 4                                    // 0000000085D8: 85358482
	v_mul_lo_u32 v4, v4, s53                                   // 0000000085DC: D2850004 00006B04
	v_and_b32_e64 v5, v0, 1                                    // 0000000085E4: D1130005 00010300
	v_add_u32_e32 v4, v4, v5                                   // 0000000085EC: 68080B04
	v_lshlrev_b32_e32 v4, 2, v4                                // 0000000085F0: 24080882
	v_add_u32_e32 v96, v96, v4                                 // 0000000085F4: 68C00960
	v_add_u32_e32 v97, v97, v4                                 // 0000000085F8: 68C20961
	v_add_u32_e32 v98, v98, v4                                 // 0000000085FC: 68C40962
	v_add_u32_e32 v99, v99, v4                                 // 000000008600: 68C60963
	v_add_u32_e32 v100, v100, v4                               // 000000008604: 68C80964
	v_add_u32_e32 v101, v101, v4                               // 000000008608: 68CA0965
	v_add_u32_e32 v102, v102, v4                               // 00000000860C: 68CC0966
	v_add_u32_e32 v103, v103, v4                               // 000000008610: 68CE0967
	v_add_u32_e32 v104, v104, v4                               // 000000008614: 68D00968
	v_add_u32_e32 v105, v105, v4                               // 000000008618: 68D20969
	v_add_u32_e32 v106, v106, v4                               // 00000000861C: 68D4096A
	v_add_u32_e32 v107, v107, v4                               // 000000008620: 68D6096B
	v_add_u32_e32 v108, v108, v4                               // 000000008624: 68D8096C
	v_add_u32_e32 v109, v109, v4                               // 000000008628: 68DA096D
	v_add_u32_e32 v110, v110, v4                               // 00000000862C: 68DC096E
	v_add_u32_e32 v111, v111, v4                               // 000000008630: 68DE096F
	s_waitcnt lgkmcnt(0)                                       // 000000008634: BF8CC07F
	s_barrier                                                  // 000000008638: BF8A0000
	ds_read_b32 v64, v17                                       // 00000000863C: D86C0000 40000011
	ds_read_b32 v65, v17 offset:64                             // 000000008644: D86C0040 41000011
	ds_read_b32 v66, v17 offset:2176                           // 00000000864C: D86C0880 42000011
	ds_read_b32 v67, v17 offset:2240                           // 000000008654: D86C08C0 43000011
	ds_read_b32 v68, v17 offset:4352                           // 00000000865C: D86C1100 44000011
	ds_read_b32 v69, v17 offset:4416                           // 000000008664: D86C1140 45000011
	ds_read_b32 v70, v17 offset:6528                           // 00000000866C: D86C1980 46000011
	ds_read_b32 v71, v17 offset:6592                           // 000000008674: D86C19C0 47000011
	ds_read_b32 v72, v17 offset:8704                           // 00000000867C: D86C2200 48000011
	ds_read_b32 v73, v17 offset:8768                           // 000000008684: D86C2240 49000011
	ds_read_b32 v74, v17 offset:10880                          // 00000000868C: D86C2A80 4A000011
	ds_read_b32 v75, v17 offset:10944                          // 000000008694: D86C2AC0 4B000011
	ds_read_b32 v76, v17 offset:13056                          // 00000000869C: D86C3300 4C000011
	ds_read_b32 v77, v17 offset:13120                          // 0000000086A4: D86C3340 4D000011
	ds_read_b32 v78, v17 offset:15232                          // 0000000086AC: D86C3B80 4E000011
	ds_read_b32 v79, v17 offset:15296                          // 0000000086B4: D86C3BC0 4F000011
	ds_read_b32 v80, v17 offset:17408                          // 0000000086BC: D86C4400 50000011
	ds_read_b32 v81, v17 offset:17472                          // 0000000086C4: D86C4440 51000011
	ds_read_b32 v82, v17 offset:19584                          // 0000000086CC: D86C4C80 52000011
	ds_read_b32 v83, v17 offset:19648                          // 0000000086D4: D86C4CC0 53000011
	ds_read_b32 v84, v17 offset:21760                          // 0000000086DC: D86C5500 54000011
	ds_read_b32 v85, v17 offset:21824                          // 0000000086E4: D86C5540 55000011
	ds_read_b32 v86, v17 offset:23936                          // 0000000086EC: D86C5D80 56000011
	ds_read_b32 v87, v17 offset:24000                          // 0000000086F4: D86C5DC0 57000011
	ds_read_b32 v88, v17 offset:26112                          // 0000000086FC: D86C6600 58000011
	ds_read_b32 v89, v17 offset:26176                          // 000000008704: D86C6640 59000011
	ds_read_b32 v90, v17 offset:28288                          // 00000000870C: D86C6E80 5A000011
	ds_read_b32 v91, v17 offset:28352                          // 000000008714: D86C6EC0 5B000011
	ds_read_b32 v92, v17 offset:30464                          // 00000000871C: D86C7700 5C000011
	ds_read_b32 v93, v17 offset:30528                          // 000000008724: D86C7740 5D000011
	ds_read_b32 v94, v17 offset:32640                          // 00000000872C: D86C7F80 5E000011
	ds_read_b32 v95, v17 offset:32704                          // 000000008734: D86C7FC0 5F000011
	s_waitcnt lgkmcnt(0)                                       // 00000000873C: BF8CC07F
	s_mov_b32 s16, -1                                          // 000000008740: BE9000C1
	s_mov_b32 s17, -1                                          // 000000008744: BE9100C1
	v_mov_b32_e32 v7, 0                                        // 000000008748: 7E0E0280
	s_or_b32 s9, s9, 0x40000                                   // 00000000874C: 8709FF09 00040000
	s_mov_b64 exec, s[16:17]                                   // 000000008754: BEFE0110
	v_mov_b32_e32 v6, v96                                      // 000000008758: 7E0C0360
	s_mov_b64 s[52:53], 0                                      // 00000000875C: BEB40180
	v_readlane_b32 s72, v3, 0                                  // 000000008760: D2890048 00010103
	s_cmp_lt_u32 s72, s62                                      // 000000008768: BF0A3E48
	s_cselect_b32 s20, s16, s52                                // 00000000876C: 85143410
	v_readlane_b32 s72, v3, 1                                  // 000000008770: D2890048 00010303
	s_cmp_lt_u32 s72, s62                                      // 000000008778: BF0A3E48
	s_cselect_b32 s21, s16, s52                                // 00000000877C: 85153410
	s_mov_b64 exec, s[20:21]                                   // 000000008780: BEFE0114
	buffer_store_dword v64, v6, s[8:11], 0 offen               // 000000008784: E0701000 80024006
	buffer_store_dword v66, v6, s[8:11], 0 offen offset:128    // 00000000878C: E0701080 80024206
	s_mov_b64 exec, s[16:17]                                   // 000000008794: BEFE0110
	v_mov_b32_e32 v6, v97                                      // 000000008798: 7E0C0361
	s_mov_b64 s[52:53], 0                                      // 00000000879C: BEB40180
	v_readlane_b32 s72, v3, 2                                  // 0000000087A0: D2890048 00010503
	s_cmp_lt_u32 s72, s62                                      // 0000000087A8: BF0A3E48
	s_cselect_b32 s20, s16, s52                                // 0000000087AC: 85143410
	v_readlane_b32 s72, v3, 3                                  // 0000000087B0: D2890048 00010703
	s_cmp_lt_u32 s72, s62                                      // 0000000087B8: BF0A3E48
	s_cselect_b32 s21, s16, s52                                // 0000000087BC: 85153410
	s_mov_b64 exec, s[20:21]                                   // 0000000087C0: BEFE0114
	buffer_store_dword v65, v6, s[8:11], 0 offen               // 0000000087C4: E0701000 80024106
	buffer_store_dword v67, v6, s[8:11], 0 offen offset:128    // 0000000087CC: E0701080 80024306
	s_mov_b64 exec, s[16:17]                                   // 0000000087D4: BEFE0110
	v_mov_b32_e32 v6, v98                                      // 0000000087D8: 7E0C0362
	s_mov_b64 s[52:53], 0                                      // 0000000087DC: BEB40180
	v_readlane_b32 s72, v3, 4                                  // 0000000087E0: D2890048 00010903
	s_cmp_lt_u32 s72, s62                                      // 0000000087E8: BF0A3E48
	s_cselect_b32 s20, s16, s52                                // 0000000087EC: 85143410
	v_readlane_b32 s72, v3, 5                                  // 0000000087F0: D2890048 00010B03
	s_cmp_lt_u32 s72, s62                                      // 0000000087F8: BF0A3E48
	s_cselect_b32 s21, s16, s52                                // 0000000087FC: 85153410
	s_mov_b64 exec, s[20:21]                                   // 000000008800: BEFE0114
	buffer_store_dword v68, v6, s[8:11], 0 offen               // 000000008804: E0701000 80024406
	buffer_store_dword v70, v6, s[8:11], 0 offen offset:128    // 00000000880C: E0701080 80024606
	s_mov_b64 exec, s[16:17]                                   // 000000008814: BEFE0110
	v_mov_b32_e32 v6, v99                                      // 000000008818: 7E0C0363
	s_mov_b64 s[52:53], 0                                      // 00000000881C: BEB40180
	v_readlane_b32 s72, v3, 6                                  // 000000008820: D2890048 00010D03
	s_cmp_lt_u32 s72, s62                                      // 000000008828: BF0A3E48
	s_cselect_b32 s20, s16, s52                                // 00000000882C: 85143410
	v_readlane_b32 s72, v3, 7                                  // 000000008830: D2890048 00010F03
	s_cmp_lt_u32 s72, s62                                      // 000000008838: BF0A3E48
	s_cselect_b32 s21, s16, s52                                // 00000000883C: 85153410
	s_mov_b64 exec, s[20:21]                                   // 000000008840: BEFE0114
	buffer_store_dword v69, v6, s[8:11], 0 offen               // 000000008844: E0701000 80024506
	buffer_store_dword v71, v6, s[8:11], 0 offen offset:128    // 00000000884C: E0701080 80024706
	s_mov_b64 exec, s[16:17]                                   // 000000008854: BEFE0110
	v_mov_b32_e32 v6, v100                                     // 000000008858: 7E0C0364
	s_mov_b64 s[52:53], 0                                      // 00000000885C: BEB40180
	v_readlane_b32 s72, v3, 8                                  // 000000008860: D2890048 00011103
	s_cmp_lt_u32 s72, s62                                      // 000000008868: BF0A3E48
	s_cselect_b32 s20, s16, s52                                // 00000000886C: 85143410
	v_readlane_b32 s72, v3, 9                                  // 000000008870: D2890048 00011303
	s_cmp_lt_u32 s72, s62                                      // 000000008878: BF0A3E48
	s_cselect_b32 s21, s16, s52                                // 00000000887C: 85153410
	s_mov_b64 exec, s[20:21]                                   // 000000008880: BEFE0114
	buffer_store_dword v72, v6, s[8:11], 0 offen               // 000000008884: E0701000 80024806
	buffer_store_dword v74, v6, s[8:11], 0 offen offset:128    // 00000000888C: E0701080 80024A06
	s_mov_b64 exec, s[16:17]                                   // 000000008894: BEFE0110
	v_mov_b32_e32 v6, v101                                     // 000000008898: 7E0C0365
	s_mov_b64 s[52:53], 0                                      // 00000000889C: BEB40180
	v_readlane_b32 s72, v3, 10                                 // 0000000088A0: D2890048 00011503
	s_cmp_lt_u32 s72, s62                                      // 0000000088A8: BF0A3E48
	s_cselect_b32 s20, s16, s52                                // 0000000088AC: 85143410
	v_readlane_b32 s72, v3, 11                                 // 0000000088B0: D2890048 00011703
	s_cmp_lt_u32 s72, s62                                      // 0000000088B8: BF0A3E48
	s_cselect_b32 s21, s16, s52                                // 0000000088BC: 85153410
	s_mov_b64 exec, s[20:21]                                   // 0000000088C0: BEFE0114
	buffer_store_dword v73, v6, s[8:11], 0 offen               // 0000000088C4: E0701000 80024906
	buffer_store_dword v75, v6, s[8:11], 0 offen offset:128    // 0000000088CC: E0701080 80024B06
	s_mov_b64 exec, s[16:17]                                   // 0000000088D4: BEFE0110
	v_mov_b32_e32 v6, v102                                     // 0000000088D8: 7E0C0366
	s_mov_b64 s[52:53], 0                                      // 0000000088DC: BEB40180
	v_readlane_b32 s72, v3, 12                                 // 0000000088E0: D2890048 00011903
	s_cmp_lt_u32 s72, s62                                      // 0000000088E8: BF0A3E48
	s_cselect_b32 s20, s16, s52                                // 0000000088EC: 85143410
	v_readlane_b32 s72, v3, 13                                 // 0000000088F0: D2890048 00011B03
	s_cmp_lt_u32 s72, s62                                      // 0000000088F8: BF0A3E48
	s_cselect_b32 s21, s16, s52                                // 0000000088FC: 85153410
	s_mov_b64 exec, s[20:21]                                   // 000000008900: BEFE0114
	buffer_store_dword v76, v6, s[8:11], 0 offen               // 000000008904: E0701000 80024C06
	buffer_store_dword v78, v6, s[8:11], 0 offen offset:128    // 00000000890C: E0701080 80024E06
	s_mov_b64 exec, s[16:17]                                   // 000000008914: BEFE0110
	v_mov_b32_e32 v6, v103                                     // 000000008918: 7E0C0367
	s_mov_b64 s[52:53], 0                                      // 00000000891C: BEB40180
	v_readlane_b32 s72, v3, 14                                 // 000000008920: D2890048 00011D03
	s_cmp_lt_u32 s72, s62                                      // 000000008928: BF0A3E48
	s_cselect_b32 s20, s16, s52                                // 00000000892C: 85143410
	v_readlane_b32 s72, v3, 15                                 // 000000008930: D2890048 00011F03
	s_cmp_lt_u32 s72, s62                                      // 000000008938: BF0A3E48
	s_cselect_b32 s21, s16, s52                                // 00000000893C: 85153410
	s_mov_b64 exec, s[20:21]                                   // 000000008940: BEFE0114
	buffer_store_dword v77, v6, s[8:11], 0 offen               // 000000008944: E0701000 80024D06
	buffer_store_dword v79, v6, s[8:11], 0 offen offset:128    // 00000000894C: E0701080 80024F06
	s_mov_b64 exec, s[16:17]                                   // 000000008954: BEFE0110
	v_mov_b32_e32 v6, v104                                     // 000000008958: 7E0C0368
	s_mov_b64 s[52:53], 0                                      // 00000000895C: BEB40180
	v_readlane_b32 s72, v3, 16                                 // 000000008960: D2890048 00012103
	s_cmp_lt_u32 s72, s62                                      // 000000008968: BF0A3E48
	s_cselect_b32 s20, s16, s52                                // 00000000896C: 85143410
	v_readlane_b32 s72, v3, 17                                 // 000000008970: D2890048 00012303
	s_cmp_lt_u32 s72, s62                                      // 000000008978: BF0A3E48
	s_cselect_b32 s21, s16, s52                                // 00000000897C: 85153410
	s_mov_b64 exec, s[20:21]                                   // 000000008980: BEFE0114
	buffer_store_dword v80, v6, s[8:11], 0 offen               // 000000008984: E0701000 80025006
	buffer_store_dword v82, v6, s[8:11], 0 offen offset:128    // 00000000898C: E0701080 80025206
	s_mov_b64 exec, s[16:17]                                   // 000000008994: BEFE0110
	v_mov_b32_e32 v6, v105                                     // 000000008998: 7E0C0369
	s_mov_b64 s[52:53], 0                                      // 00000000899C: BEB40180
	v_readlane_b32 s72, v3, 18                                 // 0000000089A0: D2890048 00012503
	s_cmp_lt_u32 s72, s62                                      // 0000000089A8: BF0A3E48
	s_cselect_b32 s20, s16, s52                                // 0000000089AC: 85143410
	v_readlane_b32 s72, v3, 19                                 // 0000000089B0: D2890048 00012703
	s_cmp_lt_u32 s72, s62                                      // 0000000089B8: BF0A3E48
	s_cselect_b32 s21, s16, s52                                // 0000000089BC: 85153410
	s_mov_b64 exec, s[20:21]                                   // 0000000089C0: BEFE0114
	buffer_store_dword v81, v6, s[8:11], 0 offen               // 0000000089C4: E0701000 80025106
	buffer_store_dword v83, v6, s[8:11], 0 offen offset:128    // 0000000089CC: E0701080 80025306
	s_mov_b64 exec, s[16:17]                                   // 0000000089D4: BEFE0110
	v_mov_b32_e32 v6, v106                                     // 0000000089D8: 7E0C036A
	s_mov_b64 s[52:53], 0                                      // 0000000089DC: BEB40180
	v_readlane_b32 s72, v3, 20                                 // 0000000089E0: D2890048 00012903
	s_cmp_lt_u32 s72, s62                                      // 0000000089E8: BF0A3E48
	s_cselect_b32 s20, s16, s52                                // 0000000089EC: 85143410
	v_readlane_b32 s72, v3, 21                                 // 0000000089F0: D2890048 00012B03
	s_cmp_lt_u32 s72, s62                                      // 0000000089F8: BF0A3E48
	s_cselect_b32 s21, s16, s52                                // 0000000089FC: 85153410
	s_mov_b64 exec, s[20:21]                                   // 000000008A00: BEFE0114
	buffer_store_dword v84, v6, s[8:11], 0 offen               // 000000008A04: E0701000 80025406
	buffer_store_dword v86, v6, s[8:11], 0 offen offset:128    // 000000008A0C: E0701080 80025606
	s_mov_b64 exec, s[16:17]                                   // 000000008A14: BEFE0110
	v_mov_b32_e32 v6, v107                                     // 000000008A18: 7E0C036B
	s_mov_b64 s[52:53], 0                                      // 000000008A1C: BEB40180
	v_readlane_b32 s72, v3, 22                                 // 000000008A20: D2890048 00012D03
	s_cmp_lt_u32 s72, s62                                      // 000000008A28: BF0A3E48
	s_cselect_b32 s20, s16, s52                                // 000000008A2C: 85143410
	v_readlane_b32 s72, v3, 23                                 // 000000008A30: D2890048 00012F03
	s_cmp_lt_u32 s72, s62                                      // 000000008A38: BF0A3E48
	s_cselect_b32 s21, s16, s52                                // 000000008A3C: 85153410
	s_mov_b64 exec, s[20:21]                                   // 000000008A40: BEFE0114
	buffer_store_dword v85, v6, s[8:11], 0 offen               // 000000008A44: E0701000 80025506
	buffer_store_dword v87, v6, s[8:11], 0 offen offset:128    // 000000008A4C: E0701080 80025706
	s_mov_b64 exec, s[16:17]                                   // 000000008A54: BEFE0110
	v_mov_b32_e32 v6, v108                                     // 000000008A58: 7E0C036C
	s_mov_b64 s[52:53], 0                                      // 000000008A5C: BEB40180
	v_readlane_b32 s72, v3, 24                                 // 000000008A60: D2890048 00013103
	s_cmp_lt_u32 s72, s62                                      // 000000008A68: BF0A3E48
	s_cselect_b32 s20, s16, s52                                // 000000008A6C: 85143410
	v_readlane_b32 s72, v3, 25                                 // 000000008A70: D2890048 00013303
	s_cmp_lt_u32 s72, s62                                      // 000000008A78: BF0A3E48
	s_cselect_b32 s21, s16, s52                                // 000000008A7C: 85153410
	s_mov_b64 exec, s[20:21]                                   // 000000008A80: BEFE0114
	buffer_store_dword v88, v6, s[8:11], 0 offen               // 000000008A84: E0701000 80025806
	buffer_store_dword v90, v6, s[8:11], 0 offen offset:128    // 000000008A8C: E0701080 80025A06
	s_mov_b64 exec, s[16:17]                                   // 000000008A94: BEFE0110
	v_mov_b32_e32 v6, v109                                     // 000000008A98: 7E0C036D
	s_mov_b64 s[52:53], 0                                      // 000000008A9C: BEB40180
	v_readlane_b32 s72, v3, 26                                 // 000000008AA0: D2890048 00013503
	s_cmp_lt_u32 s72, s62                                      // 000000008AA8: BF0A3E48
	s_cselect_b32 s20, s16, s52                                // 000000008AAC: 85143410
	v_readlane_b32 s72, v3, 27                                 // 000000008AB0: D2890048 00013703
	s_cmp_lt_u32 s72, s62                                      // 000000008AB8: BF0A3E48
	s_cselect_b32 s21, s16, s52                                // 000000008ABC: 85153410
	s_mov_b64 exec, s[20:21]                                   // 000000008AC0: BEFE0114
	buffer_store_dword v89, v6, s[8:11], 0 offen               // 000000008AC4: E0701000 80025906
	buffer_store_dword v91, v6, s[8:11], 0 offen offset:128    // 000000008ACC: E0701080 80025B06
	s_mov_b64 exec, s[16:17]                                   // 000000008AD4: BEFE0110
	v_mov_b32_e32 v6, v110                                     // 000000008AD8: 7E0C036E
	s_mov_b64 s[52:53], 0                                      // 000000008ADC: BEB40180
	v_readlane_b32 s72, v3, 28                                 // 000000008AE0: D2890048 00013903
	s_cmp_lt_u32 s72, s62                                      // 000000008AE8: BF0A3E48
	s_cselect_b32 s20, s16, s52                                // 000000008AEC: 85143410
	v_readlane_b32 s72, v3, 29                                 // 000000008AF0: D2890048 00013B03
	s_cmp_lt_u32 s72, s62                                      // 000000008AF8: BF0A3E48
	s_cselect_b32 s21, s16, s52                                // 000000008AFC: 85153410
	s_mov_b64 exec, s[20:21]                                   // 000000008B00: BEFE0114
	buffer_store_dword v92, v6, s[8:11], 0 offen               // 000000008B04: E0701000 80025C06
	buffer_store_dword v94, v6, s[8:11], 0 offen offset:128    // 000000008B0C: E0701080 80025E06
	s_mov_b64 exec, s[16:17]                                   // 000000008B14: BEFE0110
	v_mov_b32_e32 v6, v111                                     // 000000008B18: 7E0C036F
	s_mov_b64 s[52:53], 0                                      // 000000008B1C: BEB40180
	v_readlane_b32 s72, v3, 30                                 // 000000008B20: D2890048 00013D03
	s_cmp_lt_u32 s72, s62                                      // 000000008B28: BF0A3E48
	s_cselect_b32 s20, s16, s52                                // 000000008B2C: 85143410
	v_readlane_b32 s72, v3, 31                                 // 000000008B30: D2890048 00013F03
	s_cmp_lt_u32 s72, s62                                      // 000000008B38: BF0A3E48
	s_cselect_b32 s21, s16, s52                                // 000000008B3C: 85153410
	s_mov_b64 exec, s[20:21]                                   // 000000008B40: BEFE0114
	buffer_store_dword v93, v6, s[8:11], 0 offen               // 000000008B44: E0701000 80025D06
	buffer_store_dword v95, v6, s[8:11], 0 offen offset:128    // 000000008B4C: E0701080 80025F06
	s_mov_b64 exec, s[16:17]                                   // 000000008B54: BEFE0110
	s_waitcnt lgkmcnt(0)                                       // 000000008B58: BF8CC07F
	s_barrier                                                  // 000000008B5C: BF8A0000
	ds_write_b64 v16, v[128:129]                               // 000000008B60: D89A0000 00008010
	ds_write_b64 v16, v[130:131] offset:4352                   // 000000008B68: D89A1100 00008210
	ds_write_b64 v16, v[132:133] offset:8704                   // 000000008B70: D89A2200 00008410
	ds_write_b64 v16, v[134:135] offset:13056                  // 000000008B78: D89A3300 00008610
	ds_write_b64 v16, v[136:137] offset:17408                  // 000000008B80: D89A4400 00008810
	ds_write_b64 v16, v[138:139] offset:21760                  // 000000008B88: D89A5500 00008A10
	ds_write_b64 v16, v[140:141] offset:26112                  // 000000008B90: D89A6600 00008C10
	ds_write_b64 v16, v[142:143] offset:30464                  // 000000008B98: D89A7700 00008E10
	ds_write_b64 v16, v[144:145] offset:2176                   // 000000008BA0: D89A0880 00009010
	ds_write_b64 v16, v[146:147] offset:6528                   // 000000008BA8: D89A1980 00009210
	ds_write_b64 v16, v[148:149] offset:10880                  // 000000008BB0: D89A2A80 00009410
	ds_write_b64 v16, v[150:151] offset:15232                  // 000000008BB8: D89A3B80 00009610
	ds_write_b64 v16, v[152:153] offset:19584                  // 000000008BC0: D89A4C80 00009810
	ds_write_b64 v16, v[154:155] offset:23936                  // 000000008BC8: D89A5D80 00009A10
	ds_write_b64 v16, v[156:157] offset:28288                  // 000000008BD0: D89A6E80 00009C10
	ds_write_b64 v16, v[158:159] offset:32640                  // 000000008BD8: D89A7F80 00009E10
	s_waitcnt lgkmcnt(0)                                       // 000000008BE0: BF8CC07F
	s_barrier                                                  // 000000008BE4: BF8A0000
	ds_read_b32 v128, v17                                      // 000000008BE8: D86C0000 80000011
	ds_read_b32 v129, v17 offset:64                            // 000000008BF0: D86C0040 81000011
	ds_read_b32 v130, v17 offset:2176                          // 000000008BF8: D86C0880 82000011
	ds_read_b32 v131, v17 offset:2240                          // 000000008C00: D86C08C0 83000011
	ds_read_b32 v132, v17 offset:4352                          // 000000008C08: D86C1100 84000011
	ds_read_b32 v133, v17 offset:4416                          // 000000008C10: D86C1140 85000011
	ds_read_b32 v134, v17 offset:6528                          // 000000008C18: D86C1980 86000011
	ds_read_b32 v135, v17 offset:6592                          // 000000008C20: D86C19C0 87000011
	ds_read_b32 v136, v17 offset:8704                          // 000000008C28: D86C2200 88000011
	ds_read_b32 v137, v17 offset:8768                          // 000000008C30: D86C2240 89000011
	ds_read_b32 v138, v17 offset:10880                         // 000000008C38: D86C2A80 8A000011
	ds_read_b32 v139, v17 offset:10944                         // 000000008C40: D86C2AC0 8B000011
	ds_read_b32 v140, v17 offset:13056                         // 000000008C48: D86C3300 8C000011
	ds_read_b32 v141, v17 offset:13120                         // 000000008C50: D86C3340 8D000011
	ds_read_b32 v142, v17 offset:15232                         // 000000008C58: D86C3B80 8E000011
	ds_read_b32 v143, v17 offset:15296                         // 000000008C60: D86C3BC0 8F000011
	ds_read_b32 v144, v17 offset:17408                         // 000000008C68: D86C4400 90000011
	ds_read_b32 v145, v17 offset:17472                         // 000000008C70: D86C4440 91000011
	ds_read_b32 v146, v17 offset:19584                         // 000000008C78: D86C4C80 92000011
	ds_read_b32 v147, v17 offset:19648                         // 000000008C80: D86C4CC0 93000011
	ds_read_b32 v148, v17 offset:21760                         // 000000008C88: D86C5500 94000011
	ds_read_b32 v149, v17 offset:21824                         // 000000008C90: D86C5540 95000011
	ds_read_b32 v150, v17 offset:23936                         // 000000008C98: D86C5D80 96000011
	ds_read_b32 v151, v17 offset:24000                         // 000000008CA0: D86C5DC0 97000011
	ds_read_b32 v152, v17 offset:26112                         // 000000008CA8: D86C6600 98000011
	ds_read_b32 v153, v17 offset:26176                         // 000000008CB0: D86C6640 99000011
	ds_read_b32 v154, v17 offset:28288                         // 000000008CB8: D86C6E80 9A000011
	ds_read_b32 v155, v17 offset:28352                         // 000000008CC0: D86C6EC0 9B000011
	ds_read_b32 v156, v17 offset:30464                         // 000000008CC8: D86C7700 9C000011
	ds_read_b32 v157, v17 offset:30528                         // 000000008CD0: D86C7740 9D000011
	ds_read_b32 v158, v17 offset:32640                         // 000000008CD8: D86C7F80 9E000011
	ds_read_b32 v159, v17 offset:32704                         // 000000008CE0: D86C7FC0 9F000011
	s_waitcnt lgkmcnt(0)                                       // 000000008CE8: BF8CC07F
	s_mov_b32 s16, -1                                          // 000000008CEC: BE9000C1
	s_mov_b32 s17, -1                                          // 000000008CF0: BE9100C1
	v_mov_b32_e32 v7, 0                                        // 000000008CF4: 7E0E0280
	s_add_u32 s8, 0x100, s8                                    // 000000008CF8: 800808FF 00000100
	s_addc_u32 s9, 0, s9                                       // 000000008D00: 82090980
	s_or_b32 s9, s9, 0x40000                                   // 000000008D04: 8709FF09 00040000
	s_mov_b64 exec, s[16:17]                                   // 000000008D0C: BEFE0110
	v_mov_b32_e32 v6, v96                                      // 000000008D10: 7E0C0360
	s_mov_b64 s[52:53], 0                                      // 000000008D14: BEB40180
	v_readlane_b32 s72, v3, 0                                  // 000000008D18: D2890048 00010103
	s_cmp_lt_u32 s72, s62                                      // 000000008D20: BF0A3E48
	s_cselect_b32 s20, s16, s52                                // 000000008D24: 85143410
	v_readlane_b32 s72, v3, 1                                  // 000000008D28: D2890048 00010303
	s_cmp_lt_u32 s72, s62                                      // 000000008D30: BF0A3E48
	s_cselect_b32 s21, s16, s52                                // 000000008D34: 85153410
	s_mov_b64 exec, s[20:21]                                   // 000000008D38: BEFE0114
	buffer_store_dword v128, v6, s[8:11], 0 offen              // 000000008D3C: E0701000 80028006
	buffer_store_dword v130, v6, s[8:11], 0 offen offset:128   // 000000008D44: E0701080 80028206
	s_mov_b64 exec, s[16:17]                                   // 000000008D4C: BEFE0110
	v_mov_b32_e32 v6, v97                                      // 000000008D50: 7E0C0361
	s_mov_b64 s[52:53], 0                                      // 000000008D54: BEB40180
	v_readlane_b32 s72, v3, 2                                  // 000000008D58: D2890048 00010503
	s_cmp_lt_u32 s72, s62                                      // 000000008D60: BF0A3E48
	s_cselect_b32 s20, s16, s52                                // 000000008D64: 85143410
	v_readlane_b32 s72, v3, 3                                  // 000000008D68: D2890048 00010703
	s_cmp_lt_u32 s72, s62                                      // 000000008D70: BF0A3E48
	s_cselect_b32 s21, s16, s52                                // 000000008D74: 85153410
	s_mov_b64 exec, s[20:21]                                   // 000000008D78: BEFE0114
	buffer_store_dword v129, v6, s[8:11], 0 offen              // 000000008D7C: E0701000 80028106
	buffer_store_dword v131, v6, s[8:11], 0 offen offset:128   // 000000008D84: E0701080 80028306
	s_mov_b64 exec, s[16:17]                                   // 000000008D8C: BEFE0110
	v_mov_b32_e32 v6, v98                                      // 000000008D90: 7E0C0362
	s_mov_b64 s[52:53], 0                                      // 000000008D94: BEB40180
	v_readlane_b32 s72, v3, 4                                  // 000000008D98: D2890048 00010903
	s_cmp_lt_u32 s72, s62                                      // 000000008DA0: BF0A3E48
	s_cselect_b32 s20, s16, s52                                // 000000008DA4: 85143410
	v_readlane_b32 s72, v3, 5                                  // 000000008DA8: D2890048 00010B03
	s_cmp_lt_u32 s72, s62                                      // 000000008DB0: BF0A3E48
	s_cselect_b32 s21, s16, s52                                // 000000008DB4: 85153410
	s_mov_b64 exec, s[20:21]                                   // 000000008DB8: BEFE0114
	buffer_store_dword v132, v6, s[8:11], 0 offen              // 000000008DBC: E0701000 80028406
	buffer_store_dword v134, v6, s[8:11], 0 offen offset:128   // 000000008DC4: E0701080 80028606
	s_mov_b64 exec, s[16:17]                                   // 000000008DCC: BEFE0110
	v_mov_b32_e32 v6, v99                                      // 000000008DD0: 7E0C0363
	s_mov_b64 s[52:53], 0                                      // 000000008DD4: BEB40180
	v_readlane_b32 s72, v3, 6                                  // 000000008DD8: D2890048 00010D03
	s_cmp_lt_u32 s72, s62                                      // 000000008DE0: BF0A3E48
	s_cselect_b32 s20, s16, s52                                // 000000008DE4: 85143410
	v_readlane_b32 s72, v3, 7                                  // 000000008DE8: D2890048 00010F03
	s_cmp_lt_u32 s72, s62                                      // 000000008DF0: BF0A3E48
	s_cselect_b32 s21, s16, s52                                // 000000008DF4: 85153410
	s_mov_b64 exec, s[20:21]                                   // 000000008DF8: BEFE0114
	buffer_store_dword v133, v6, s[8:11], 0 offen              // 000000008DFC: E0701000 80028506
	buffer_store_dword v135, v6, s[8:11], 0 offen offset:128   // 000000008E04: E0701080 80028706
	s_mov_b64 exec, s[16:17]                                   // 000000008E0C: BEFE0110
	v_mov_b32_e32 v6, v100                                     // 000000008E10: 7E0C0364
	s_mov_b64 s[52:53], 0                                      // 000000008E14: BEB40180
	v_readlane_b32 s72, v3, 8                                  // 000000008E18: D2890048 00011103
	s_cmp_lt_u32 s72, s62                                      // 000000008E20: BF0A3E48
	s_cselect_b32 s20, s16, s52                                // 000000008E24: 85143410
	v_readlane_b32 s72, v3, 9                                  // 000000008E28: D2890048 00011303
	s_cmp_lt_u32 s72, s62                                      // 000000008E30: BF0A3E48
	s_cselect_b32 s21, s16, s52                                // 000000008E34: 85153410
	s_mov_b64 exec, s[20:21]                                   // 000000008E38: BEFE0114
	buffer_store_dword v136, v6, s[8:11], 0 offen              // 000000008E3C: E0701000 80028806
	buffer_store_dword v138, v6, s[8:11], 0 offen offset:128   // 000000008E44: E0701080 80028A06
	s_mov_b64 exec, s[16:17]                                   // 000000008E4C: BEFE0110
	v_mov_b32_e32 v6, v101                                     // 000000008E50: 7E0C0365
	s_mov_b64 s[52:53], 0                                      // 000000008E54: BEB40180
	v_readlane_b32 s72, v3, 10                                 // 000000008E58: D2890048 00011503
	s_cmp_lt_u32 s72, s62                                      // 000000008E60: BF0A3E48
	s_cselect_b32 s20, s16, s52                                // 000000008E64: 85143410
	v_readlane_b32 s72, v3, 11                                 // 000000008E68: D2890048 00011703
	s_cmp_lt_u32 s72, s62                                      // 000000008E70: BF0A3E48
	s_cselect_b32 s21, s16, s52                                // 000000008E74: 85153410
	s_mov_b64 exec, s[20:21]                                   // 000000008E78: BEFE0114
	buffer_store_dword v137, v6, s[8:11], 0 offen              // 000000008E7C: E0701000 80028906
	buffer_store_dword v139, v6, s[8:11], 0 offen offset:128   // 000000008E84: E0701080 80028B06
	s_mov_b64 exec, s[16:17]                                   // 000000008E8C: BEFE0110
	v_mov_b32_e32 v6, v102                                     // 000000008E90: 7E0C0366
	s_mov_b64 s[52:53], 0                                      // 000000008E94: BEB40180
	v_readlane_b32 s72, v3, 12                                 // 000000008E98: D2890048 00011903
	s_cmp_lt_u32 s72, s62                                      // 000000008EA0: BF0A3E48
	s_cselect_b32 s20, s16, s52                                // 000000008EA4: 85143410
	v_readlane_b32 s72, v3, 13                                 // 000000008EA8: D2890048 00011B03
	s_cmp_lt_u32 s72, s62                                      // 000000008EB0: BF0A3E48
	s_cselect_b32 s21, s16, s52                                // 000000008EB4: 85153410
	s_mov_b64 exec, s[20:21]                                   // 000000008EB8: BEFE0114
	buffer_store_dword v140, v6, s[8:11], 0 offen              // 000000008EBC: E0701000 80028C06
	buffer_store_dword v142, v6, s[8:11], 0 offen offset:128   // 000000008EC4: E0701080 80028E06
	s_mov_b64 exec, s[16:17]                                   // 000000008ECC: BEFE0110
	v_mov_b32_e32 v6, v103                                     // 000000008ED0: 7E0C0367
	s_mov_b64 s[52:53], 0                                      // 000000008ED4: BEB40180
	v_readlane_b32 s72, v3, 14                                 // 000000008ED8: D2890048 00011D03
	s_cmp_lt_u32 s72, s62                                      // 000000008EE0: BF0A3E48
	s_cselect_b32 s20, s16, s52                                // 000000008EE4: 85143410
	v_readlane_b32 s72, v3, 15                                 // 000000008EE8: D2890048 00011F03
	s_cmp_lt_u32 s72, s62                                      // 000000008EF0: BF0A3E48
	s_cselect_b32 s21, s16, s52                                // 000000008EF4: 85153410
	s_mov_b64 exec, s[20:21]                                   // 000000008EF8: BEFE0114
	buffer_store_dword v141, v6, s[8:11], 0 offen              // 000000008EFC: E0701000 80028D06
	buffer_store_dword v143, v6, s[8:11], 0 offen offset:128   // 000000008F04: E0701080 80028F06
	s_mov_b64 exec, s[16:17]                                   // 000000008F0C: BEFE0110
	v_mov_b32_e32 v6, v104                                     // 000000008F10: 7E0C0368
	s_mov_b64 s[52:53], 0                                      // 000000008F14: BEB40180
	v_readlane_b32 s72, v3, 16                                 // 000000008F18: D2890048 00012103
	s_cmp_lt_u32 s72, s62                                      // 000000008F20: BF0A3E48
	s_cselect_b32 s20, s16, s52                                // 000000008F24: 85143410
	v_readlane_b32 s72, v3, 17                                 // 000000008F28: D2890048 00012303
	s_cmp_lt_u32 s72, s62                                      // 000000008F30: BF0A3E48
	s_cselect_b32 s21, s16, s52                                // 000000008F34: 85153410
	s_mov_b64 exec, s[20:21]                                   // 000000008F38: BEFE0114
	buffer_store_dword v144, v6, s[8:11], 0 offen              // 000000008F3C: E0701000 80029006
	buffer_store_dword v146, v6, s[8:11], 0 offen offset:128   // 000000008F44: E0701080 80029206
	s_mov_b64 exec, s[16:17]                                   // 000000008F4C: BEFE0110
	v_mov_b32_e32 v6, v105                                     // 000000008F50: 7E0C0369
	s_mov_b64 s[52:53], 0                                      // 000000008F54: BEB40180
	v_readlane_b32 s72, v3, 18                                 // 000000008F58: D2890048 00012503
	s_cmp_lt_u32 s72, s62                                      // 000000008F60: BF0A3E48
	s_cselect_b32 s20, s16, s52                                // 000000008F64: 85143410
	v_readlane_b32 s72, v3, 19                                 // 000000008F68: D2890048 00012703
	s_cmp_lt_u32 s72, s62                                      // 000000008F70: BF0A3E48
	s_cselect_b32 s21, s16, s52                                // 000000008F74: 85153410
	s_mov_b64 exec, s[20:21]                                   // 000000008F78: BEFE0114
	buffer_store_dword v145, v6, s[8:11], 0 offen              // 000000008F7C: E0701000 80029106
	buffer_store_dword v147, v6, s[8:11], 0 offen offset:128   // 000000008F84: E0701080 80029306
	s_mov_b64 exec, s[16:17]                                   // 000000008F8C: BEFE0110
	v_mov_b32_e32 v6, v106                                     // 000000008F90: 7E0C036A
	s_mov_b64 s[52:53], 0                                      // 000000008F94: BEB40180
	v_readlane_b32 s72, v3, 20                                 // 000000008F98: D2890048 00012903
	s_cmp_lt_u32 s72, s62                                      // 000000008FA0: BF0A3E48
	s_cselect_b32 s20, s16, s52                                // 000000008FA4: 85143410
	v_readlane_b32 s72, v3, 21                                 // 000000008FA8: D2890048 00012B03
	s_cmp_lt_u32 s72, s62                                      // 000000008FB0: BF0A3E48
	s_cselect_b32 s21, s16, s52                                // 000000008FB4: 85153410
	s_mov_b64 exec, s[20:21]                                   // 000000008FB8: BEFE0114
	buffer_store_dword v148, v6, s[8:11], 0 offen              // 000000008FBC: E0701000 80029406
	buffer_store_dword v150, v6, s[8:11], 0 offen offset:128   // 000000008FC4: E0701080 80029606
	s_mov_b64 exec, s[16:17]                                   // 000000008FCC: BEFE0110
	v_mov_b32_e32 v6, v107                                     // 000000008FD0: 7E0C036B
	s_mov_b64 s[52:53], 0                                      // 000000008FD4: BEB40180
	v_readlane_b32 s72, v3, 22                                 // 000000008FD8: D2890048 00012D03
	s_cmp_lt_u32 s72, s62                                      // 000000008FE0: BF0A3E48
	s_cselect_b32 s20, s16, s52                                // 000000008FE4: 85143410
	v_readlane_b32 s72, v3, 23                                 // 000000008FE8: D2890048 00012F03
	s_cmp_lt_u32 s72, s62                                      // 000000008FF0: BF0A3E48
	s_cselect_b32 s21, s16, s52                                // 000000008FF4: 85153410
	s_mov_b64 exec, s[20:21]                                   // 000000008FF8: BEFE0114
	buffer_store_dword v149, v6, s[8:11], 0 offen              // 000000008FFC: E0701000 80029506
	buffer_store_dword v151, v6, s[8:11], 0 offen offset:128   // 000000009004: E0701080 80029706
	s_mov_b64 exec, s[16:17]                                   // 00000000900C: BEFE0110
	v_mov_b32_e32 v6, v108                                     // 000000009010: 7E0C036C
	s_mov_b64 s[52:53], 0                                      // 000000009014: BEB40180
	v_readlane_b32 s72, v3, 24                                 // 000000009018: D2890048 00013103
	s_cmp_lt_u32 s72, s62                                      // 000000009020: BF0A3E48
	s_cselect_b32 s20, s16, s52                                // 000000009024: 85143410
	v_readlane_b32 s72, v3, 25                                 // 000000009028: D2890048 00013303
	s_cmp_lt_u32 s72, s62                                      // 000000009030: BF0A3E48
	s_cselect_b32 s21, s16, s52                                // 000000009034: 85153410
	s_mov_b64 exec, s[20:21]                                   // 000000009038: BEFE0114
	buffer_store_dword v152, v6, s[8:11], 0 offen              // 00000000903C: E0701000 80029806
	buffer_store_dword v154, v6, s[8:11], 0 offen offset:128   // 000000009044: E0701080 80029A06
	s_mov_b64 exec, s[16:17]                                   // 00000000904C: BEFE0110
	v_mov_b32_e32 v6, v109                                     // 000000009050: 7E0C036D
	s_mov_b64 s[52:53], 0                                      // 000000009054: BEB40180
	v_readlane_b32 s72, v3, 26                                 // 000000009058: D2890048 00013503
	s_cmp_lt_u32 s72, s62                                      // 000000009060: BF0A3E48
	s_cselect_b32 s20, s16, s52                                // 000000009064: 85143410
	v_readlane_b32 s72, v3, 27                                 // 000000009068: D2890048 00013703
	s_cmp_lt_u32 s72, s62                                      // 000000009070: BF0A3E48
	s_cselect_b32 s21, s16, s52                                // 000000009074: 85153410
	s_mov_b64 exec, s[20:21]                                   // 000000009078: BEFE0114
	buffer_store_dword v153, v6, s[8:11], 0 offen              // 00000000907C: E0701000 80029906
	buffer_store_dword v155, v6, s[8:11], 0 offen offset:128   // 000000009084: E0701080 80029B06
	s_mov_b64 exec, s[16:17]                                   // 00000000908C: BEFE0110
	v_mov_b32_e32 v6, v110                                     // 000000009090: 7E0C036E
	s_mov_b64 s[52:53], 0                                      // 000000009094: BEB40180
	v_readlane_b32 s72, v3, 28                                 // 000000009098: D2890048 00013903
	s_cmp_lt_u32 s72, s62                                      // 0000000090A0: BF0A3E48
	s_cselect_b32 s20, s16, s52                                // 0000000090A4: 85143410
	v_readlane_b32 s72, v3, 29                                 // 0000000090A8: D2890048 00013B03
	s_cmp_lt_u32 s72, s62                                      // 0000000090B0: BF0A3E48
	s_cselect_b32 s21, s16, s52                                // 0000000090B4: 85153410
	s_mov_b64 exec, s[20:21]                                   // 0000000090B8: BEFE0114
	buffer_store_dword v156, v6, s[8:11], 0 offen              // 0000000090BC: E0701000 80029C06
	buffer_store_dword v158, v6, s[8:11], 0 offen offset:128   // 0000000090C4: E0701080 80029E06
	s_mov_b64 exec, s[16:17]                                   // 0000000090CC: BEFE0110
	v_mov_b32_e32 v6, v111                                     // 0000000090D0: 7E0C036F
	s_mov_b64 s[52:53], 0                                      // 0000000090D4: BEB40180
	v_readlane_b32 s72, v3, 30                                 // 0000000090D8: D2890048 00013D03
	s_cmp_lt_u32 s72, s62                                      // 0000000090E0: BF0A3E48
	s_cselect_b32 s20, s16, s52                                // 0000000090E4: 85143410
	v_readlane_b32 s72, v3, 31                                 // 0000000090E8: D2890048 00013F03
	s_cmp_lt_u32 s72, s62                                      // 0000000090F0: BF0A3E48
	s_cselect_b32 s21, s16, s52                                // 0000000090F4: 85153410
	s_mov_b64 exec, s[20:21]                                   // 0000000090F8: BEFE0114
	buffer_store_dword v157, v6, s[8:11], 0 offen              // 0000000090FC: E0701000 80029D06
	buffer_store_dword v159, v6, s[8:11], 0 offen offset:128   // 000000009104: E0701080 80029F06
	s_mov_b64 exec, s[16:17]                                   // 00000000910C: BEFE0110
	s_branch label_2072                                        // 000000009110: BF82066A

0000000000009114 <label_1A08>:
	ds_write_b64 v16, v[64:65]                                 // 000000009114: D89A0000 00004010
	ds_write_b64 v16, v[68:69] offset:4352                     // 00000000911C: D89A1100 00004410
	ds_write_b64 v16, v[72:73] offset:8704                     // 000000009124: D89A2200 00004810
	ds_write_b64 v16, v[76:77] offset:13056                    // 00000000912C: D89A3300 00004C10
	ds_write_b64 v16, v[80:81] offset:17408                    // 000000009134: D89A4400 00005010
	ds_write_b64 v16, v[84:85] offset:21760                    // 00000000913C: D89A5500 00005410
	ds_write_b64 v16, v[88:89] offset:26112                    // 000000009144: D89A6600 00005810
	ds_write_b64 v16, v[92:93] offset:30464                    // 00000000914C: D89A7700 00005C10
	ds_write_b64 v16, v[96:97] offset:2176                     // 000000009154: D89A0880 00006010
	ds_write_b64 v16, v[100:101] offset:6528                   // 00000000915C: D89A1980 00006410
	ds_write_b64 v16, v[104:105] offset:10880                  // 000000009164: D89A2A80 00006810
	ds_write_b64 v16, v[108:109] offset:15232                  // 00000000916C: D89A3B80 00006C10
	ds_write_b64 v16, v[112:113] offset:19584                  // 000000009174: D89A4C80 00007010
	ds_write_b64 v16, v[116:117] offset:23936                  // 00000000917C: D89A5D80 00007410
	ds_write_b64 v16, v[120:121] offset:28288                  // 000000009184: D89A6E80 00007810
	ds_write_b64 v16, v[124:125] offset:32640                  // 00000000918C: D89A7F80 00007C10
	v_lshrrev_b32_e32 v4, 5, v0                                // 000000009194: 20080085
	v_xor_b32_e32 v5, 1, v4                                    // 000000009198: 2A0A0881
	s_mul_i32 s52, s61, 2                                      // 00000000919C: 9234823D
	s_cmp_eq_u32 s74, 0                                        // 0000000091A0: BF06804A
	s_cselect_b32 s53, 1, 4                                    // 0000000091A4: 85358481
	s_mul_i32 s52, s53, s52                                    // 0000000091A8: 92343435
	v_readlane_b32 s72, v3, 0                                  // 0000000091AC: D2890048 00010103
	s_mul_i32 s72, s72, s66                                    // 0000000091B4: 92484248
	v_mul_lo_u32 v6, v5, s72                                   // 0000000091B8: D2850006 00009105
	v_readlane_b32 s72, v3, 1                                  // 0000000091C0: D2890048 00010303
	s_mul_i32 s72, s72, s66                                    // 0000000091C8: 92484248
	v_mul_lo_u32 v7, v4, s72                                   // 0000000091CC: D2850007 00009104
	v_add_u32_e32 v96, v6, v7                                  // 0000000091D4: 68C00F06
	v_readlane_b32 s72, v3, 2                                  // 0000000091D8: D2890048 00010503
	s_mul_i32 s72, s72, s66                                    // 0000000091E0: 92484248
	v_mul_lo_u32 v6, v5, s72                                   // 0000000091E4: D2850006 00009105
	v_readlane_b32 s72, v3, 3                                  // 0000000091EC: D2890048 00010703
	s_mul_i32 s72, s72, s66                                    // 0000000091F4: 92484248
	v_mul_lo_u32 v7, v4, s72                                   // 0000000091F8: D2850007 00009104
	v_add_u32_e32 v97, v6, v7                                  // 000000009200: 68C20F06
	v_readlane_b32 s72, v3, 4                                  // 000000009204: D2890048 00010903
	s_mul_i32 s72, s72, s66                                    // 00000000920C: 92484248
	v_mul_lo_u32 v6, v5, s72                                   // 000000009210: D2850006 00009105
	v_readlane_b32 s72, v3, 5                                  // 000000009218: D2890048 00010B03
	s_mul_i32 s72, s72, s66                                    // 000000009220: 92484248
	v_mul_lo_u32 v7, v4, s72                                   // 000000009224: D2850007 00009104
	v_add_u32_e32 v98, v6, v7                                  // 00000000922C: 68C40F06
	v_readlane_b32 s72, v3, 6                                  // 000000009230: D2890048 00010D03
	s_mul_i32 s72, s72, s66                                    // 000000009238: 92484248
	v_mul_lo_u32 v6, v5, s72                                   // 00000000923C: D2850006 00009105
	v_readlane_b32 s72, v3, 7                                  // 000000009244: D2890048 00010F03
	s_mul_i32 s72, s72, s66                                    // 00000000924C: 92484248
	v_mul_lo_u32 v7, v4, s72                                   // 000000009250: D2850007 00009104
	v_add_u32_e32 v99, v6, v7                                  // 000000009258: 68C60F06
	v_readlane_b32 s72, v3, 8                                  // 00000000925C: D2890048 00011103
	s_mul_i32 s72, s72, s66                                    // 000000009264: 92484248
	v_mul_lo_u32 v6, v5, s72                                   // 000000009268: D2850006 00009105
	v_readlane_b32 s72, v3, 9                                  // 000000009270: D2890048 00011303
	s_mul_i32 s72, s72, s66                                    // 000000009278: 92484248
	v_mul_lo_u32 v7, v4, s72                                   // 00000000927C: D2850007 00009104
	v_add_u32_e32 v100, v6, v7                                 // 000000009284: 68C80F06
	v_readlane_b32 s72, v3, 10                                 // 000000009288: D2890048 00011503
	s_mul_i32 s72, s72, s66                                    // 000000009290: 92484248
	v_mul_lo_u32 v6, v5, s72                                   // 000000009294: D2850006 00009105
	v_readlane_b32 s72, v3, 11                                 // 00000000929C: D2890048 00011703
	s_mul_i32 s72, s72, s66                                    // 0000000092A4: 92484248
	v_mul_lo_u32 v7, v4, s72                                   // 0000000092A8: D2850007 00009104
	v_add_u32_e32 v101, v6, v7                                 // 0000000092B0: 68CA0F06
	v_readlane_b32 s72, v3, 12                                 // 0000000092B4: D2890048 00011903
	s_mul_i32 s72, s72, s66                                    // 0000000092BC: 92484248
	v_mul_lo_u32 v6, v5, s72                                   // 0000000092C0: D2850006 00009105
	v_readlane_b32 s72, v3, 13                                 // 0000000092C8: D2890048 00011B03
	s_mul_i32 s72, s72, s66                                    // 0000000092D0: 92484248
	v_mul_lo_u32 v7, v4, s72                                   // 0000000092D4: D2850007 00009104
	v_add_u32_e32 v102, v6, v7                                 // 0000000092DC: 68CC0F06
	v_readlane_b32 s72, v3, 14                                 // 0000000092E0: D2890048 00011D03
	s_mul_i32 s72, s72, s66                                    // 0000000092E8: 92484248
	v_mul_lo_u32 v6, v5, s72                                   // 0000000092EC: D2850006 00009105
	v_readlane_b32 s72, v3, 15                                 // 0000000092F4: D2890048 00011F03
	s_mul_i32 s72, s72, s66                                    // 0000000092FC: 92484248
	v_mul_lo_u32 v7, v4, s72                                   // 000000009300: D2850007 00009104
	v_add_u32_e32 v103, v6, v7                                 // 000000009308: 68CE0F06
	v_readlane_b32 s72, v3, 16                                 // 00000000930C: D2890048 00012103
	s_mul_i32 s72, s72, s66                                    // 000000009314: 92484248
	v_mul_lo_u32 v6, v5, s72                                   // 000000009318: D2850006 00009105
	v_readlane_b32 s72, v3, 17                                 // 000000009320: D2890048 00012303
	s_mul_i32 s72, s72, s66                                    // 000000009328: 92484248
	v_mul_lo_u32 v7, v4, s72                                   // 00000000932C: D2850007 00009104
	v_add_u32_e32 v104, v6, v7                                 // 000000009334: 68D00F06
	v_readlane_b32 s72, v3, 18                                 // 000000009338: D2890048 00012503
	s_mul_i32 s72, s72, s66                                    // 000000009340: 92484248
	v_mul_lo_u32 v6, v5, s72                                   // 000000009344: D2850006 00009105
	v_readlane_b32 s72, v3, 19                                 // 00000000934C: D2890048 00012703
	s_mul_i32 s72, s72, s66                                    // 000000009354: 92484248
	v_mul_lo_u32 v7, v4, s72                                   // 000000009358: D2850007 00009104
	v_add_u32_e32 v105, v6, v7                                 // 000000009360: 68D20F06
	v_readlane_b32 s72, v3, 20                                 // 000000009364: D2890048 00012903
	s_mul_i32 s72, s72, s66                                    // 00000000936C: 92484248
	v_mul_lo_u32 v6, v5, s72                                   // 000000009370: D2850006 00009105
	v_readlane_b32 s72, v3, 21                                 // 000000009378: D2890048 00012B03
	s_mul_i32 s72, s72, s66                                    // 000000009380: 92484248
	v_mul_lo_u32 v7, v4, s72                                   // 000000009384: D2850007 00009104
	v_add_u32_e32 v106, v6, v7                                 // 00000000938C: 68D40F06
	v_readlane_b32 s72, v3, 22                                 // 000000009390: D2890048 00012D03
	s_mul_i32 s72, s72, s66                                    // 000000009398: 92484248
	v_mul_lo_u32 v6, v5, s72                                   // 00000000939C: D2850006 00009105
	v_readlane_b32 s72, v3, 23                                 // 0000000093A4: D2890048 00012F03
	s_mul_i32 s72, s72, s66                                    // 0000000093AC: 92484248
	v_mul_lo_u32 v7, v4, s72                                   // 0000000093B0: D2850007 00009104
	v_add_u32_e32 v107, v6, v7                                 // 0000000093B8: 68D60F06
	v_readlane_b32 s72, v3, 24                                 // 0000000093BC: D2890048 00013103
	s_mul_i32 s72, s72, s66                                    // 0000000093C4: 92484248
	v_mul_lo_u32 v6, v5, s72                                   // 0000000093C8: D2850006 00009105
	v_readlane_b32 s72, v3, 25                                 // 0000000093D0: D2890048 00013303
	s_mul_i32 s72, s72, s66                                    // 0000000093D8: 92484248
	v_mul_lo_u32 v7, v4, s72                                   // 0000000093DC: D2850007 00009104
	v_add_u32_e32 v108, v6, v7                                 // 0000000093E4: 68D80F06
	v_readlane_b32 s72, v3, 26                                 // 0000000093E8: D2890048 00013503
	s_mul_i32 s72, s72, s66                                    // 0000000093F0: 92484248
	v_mul_lo_u32 v6, v5, s72                                   // 0000000093F4: D2850006 00009105
	v_readlane_b32 s72, v3, 27                                 // 0000000093FC: D2890048 00013703
	s_mul_i32 s72, s72, s66                                    // 000000009404: 92484248
	v_mul_lo_u32 v7, v4, s72                                   // 000000009408: D2850007 00009104
	v_add_u32_e32 v109, v6, v7                                 // 000000009410: 68DA0F06
	v_readlane_b32 s72, v3, 28                                 // 000000009414: D2890048 00013903
	s_mul_i32 s72, s72, s66                                    // 00000000941C: 92484248
	v_mul_lo_u32 v6, v5, s72                                   // 000000009420: D2850006 00009105
	v_readlane_b32 s72, v3, 29                                 // 000000009428: D2890048 00013B03
	s_mul_i32 s72, s72, s66                                    // 000000009430: 92484248
	v_mul_lo_u32 v7, v4, s72                                   // 000000009434: D2850007 00009104
	v_add_u32_e32 v110, v6, v7                                 // 00000000943C: 68DC0F06
	v_readlane_b32 s72, v3, 30                                 // 000000009440: D2890048 00013D03
	s_mul_i32 s72, s72, s66                                    // 000000009448: 92484248
	v_mul_lo_u32 v6, v5, s72                                   // 00000000944C: D2850006 00009105
	v_readlane_b32 s72, v3, 31                                 // 000000009454: D2890048 00013F03
	s_mul_i32 s72, s72, s66                                    // 00000000945C: 92484248
	v_mul_lo_u32 v7, v4, s72                                   // 000000009460: D2850007 00009104
	v_add_u32_e32 v111, v6, v7                                 // 000000009468: 68DE0F06
	v_and_b32_e32 v4, 31, v0                                   // 00000000946C: 2608009F
	v_lshrrev_b32_e32 v4, 1, v4                                // 000000009470: 20080881
	s_cmp_eq_u32 s74, 0                                        // 000000009474: BF06804A
	s_cselect_b32 s53, 2, 4                                    // 000000009478: 85358482
	v_mul_lo_u32 v4, v4, s53                                   // 00000000947C: D2850004 00006B04
	v_and_b32_e64 v5, v0, 1                                    // 000000009484: D1130005 00010300
	v_add_u32_e32 v4, v4, v5                                   // 00000000948C: 68080B04
	v_lshlrev_b32_e32 v4, 2, v4                                // 000000009490: 24080882
	v_add_u32_e32 v96, v96, v4                                 // 000000009494: 68C00960
	v_add_u32_e32 v97, v97, v4                                 // 000000009498: 68C20961
	v_add_u32_e32 v98, v98, v4                                 // 00000000949C: 68C40962
	v_add_u32_e32 v99, v99, v4                                 // 0000000094A0: 68C60963
	v_add_u32_e32 v100, v100, v4                               // 0000000094A4: 68C80964
	v_add_u32_e32 v101, v101, v4                               // 0000000094A8: 68CA0965
	v_add_u32_e32 v102, v102, v4                               // 0000000094AC: 68CC0966
	v_add_u32_e32 v103, v103, v4                               // 0000000094B0: 68CE0967
	v_add_u32_e32 v104, v104, v4                               // 0000000094B4: 68D00968
	v_add_u32_e32 v105, v105, v4                               // 0000000094B8: 68D20969
	v_add_u32_e32 v106, v106, v4                               // 0000000094BC: 68D4096A
	v_add_u32_e32 v107, v107, v4                               // 0000000094C0: 68D6096B
	v_add_u32_e32 v108, v108, v4                               // 0000000094C4: 68D8096C
	v_add_u32_e32 v109, v109, v4                               // 0000000094C8: 68DA096D
	v_add_u32_e32 v110, v110, v4                               // 0000000094CC: 68DC096E
	v_add_u32_e32 v111, v111, v4                               // 0000000094D0: 68DE096F
	s_waitcnt lgkmcnt(0)                                       // 0000000094D4: BF8CC07F
	s_barrier                                                  // 0000000094D8: BF8A0000
	ds_read_b32 v64, v17                                       // 0000000094DC: D86C0000 40000011
	ds_read_b32 v65, v17 offset:64                             // 0000000094E4: D86C0040 41000011
	ds_read_b32 v68, v17 offset:2176                           // 0000000094EC: D86C0880 44000011
	ds_read_b32 v69, v17 offset:2240                           // 0000000094F4: D86C08C0 45000011
	ds_read_b32 v72, v17 offset:4352                           // 0000000094FC: D86C1100 48000011
	ds_read_b32 v73, v17 offset:4416                           // 000000009504: D86C1140 49000011
	ds_read_b32 v76, v17 offset:6528                           // 00000000950C: D86C1980 4C000011
	ds_read_b32 v77, v17 offset:6592                           // 000000009514: D86C19C0 4D000011
	ds_read_b32 v80, v17 offset:8704                           // 00000000951C: D86C2200 50000011
	ds_read_b32 v81, v17 offset:8768                           // 000000009524: D86C2240 51000011
	ds_read_b32 v84, v17 offset:10880                          // 00000000952C: D86C2A80 54000011
	ds_read_b32 v85, v17 offset:10944                          // 000000009534: D86C2AC0 55000011
	ds_read_b32 v88, v17 offset:13056                          // 00000000953C: D86C3300 58000011
	ds_read_b32 v89, v17 offset:13120                          // 000000009544: D86C3340 59000011
	ds_read_b32 v92, v17 offset:15232                          // 00000000954C: D86C3B80 5C000011
	ds_read_b32 v93, v17 offset:15296                          // 000000009554: D86C3BC0 5D000011
	ds_read_b32 v96, v17 offset:17408                          // 00000000955C: D86C4400 60000011
	ds_read_b32 v97, v17 offset:17472                          // 000000009564: D86C4440 61000011
	ds_read_b32 v100, v17 offset:19584                         // 00000000956C: D86C4C80 64000011
	ds_read_b32 v101, v17 offset:19648                         // 000000009574: D86C4CC0 65000011
	ds_read_b32 v104, v17 offset:21760                         // 00000000957C: D86C5500 68000011
	ds_read_b32 v105, v17 offset:21824                         // 000000009584: D86C5540 69000011
	ds_read_b32 v108, v17 offset:23936                         // 00000000958C: D86C5D80 6C000011
	ds_read_b32 v109, v17 offset:24000                         // 000000009594: D86C5DC0 6D000011
	ds_read_b32 v112, v17 offset:26112                         // 00000000959C: D86C6600 70000011
	ds_read_b32 v113, v17 offset:26176                         // 0000000095A4: D86C6640 71000011
	ds_read_b32 v116, v17 offset:28288                         // 0000000095AC: D86C6E80 74000011
	ds_read_b32 v117, v17 offset:28352                         // 0000000095B4: D86C6EC0 75000011
	ds_read_b32 v120, v17 offset:30464                         // 0000000095BC: D86C7700 78000011
	ds_read_b32 v121, v17 offset:30528                         // 0000000095C4: D86C7740 79000011
	ds_read_b32 v124, v17 offset:32640                         // 0000000095CC: D86C7F80 7C000011
	ds_read_b32 v125, v17 offset:32704                         // 0000000095D4: D86C7FC0 7D000011
	s_waitcnt lgkmcnt(0)                                       // 0000000095DC: BF8CC07F
	s_mov_b32 s16, -1                                          // 0000000095E0: BE9000C1
	s_mov_b32 s17, -1                                          // 0000000095E4: BE9100C1
	v_mov_b32_e32 v7, 0                                        // 0000000095E8: 7E0E0280
	s_mov_b64 exec, s[16:17]                                   // 0000000095EC: BEFE0110
	v_mov_b32_e32 v6, v96                                      // 0000000095F0: 7E0C0360
	s_mov_b64 s[52:53], 0                                      // 0000000095F4: BEB40180
	v_readlane_b32 s72, v3, 0                                  // 0000000095F8: D2890048 00010103
	s_cmp_lt_u32 s72, s62                                      // 000000009600: BF0A3E48
	s_cselect_b32 s20, s16, s52                                // 000000009604: 85143410
	v_readlane_b32 s72, v3, 1                                  // 000000009608: D2890048 00010303
	s_cmp_lt_u32 s72, s62                                      // 000000009610: BF0A3E48
	s_cselect_b32 s21, s16, s52                                // 000000009614: 85153410
	s_mov_b64 exec, s[20:21]                                   // 000000009618: BEFE0114
	global_atomic_add_f32 v6, v64, s[8:9]                      // 00000000961C: DD348000 00084006
	global_atomic_add_f32 v6, v68, s[8:9] offset:256           // 000000009624: DD348100 00084406
	s_mov_b64 exec, s[16:17]                                   // 00000000962C: BEFE0110
	v_mov_b32_e32 v6, v97                                      // 000000009630: 7E0C0361
	s_mov_b64 s[52:53], 0                                      // 000000009634: BEB40180
	v_readlane_b32 s72, v3, 2                                  // 000000009638: D2890048 00010503
	s_cmp_lt_u32 s72, s62                                      // 000000009640: BF0A3E48
	s_cselect_b32 s20, s16, s52                                // 000000009644: 85143410
	v_readlane_b32 s72, v3, 3                                  // 000000009648: D2890048 00010703
	s_cmp_lt_u32 s72, s62                                      // 000000009650: BF0A3E48
	s_cselect_b32 s21, s16, s52                                // 000000009654: 85153410
	s_mov_b64 exec, s[20:21]                                   // 000000009658: BEFE0114
	global_atomic_add_f32 v6, v65, s[8:9]                      // 00000000965C: DD348000 00084106
	global_atomic_add_f32 v6, v69, s[8:9] offset:256           // 000000009664: DD348100 00084506
	s_mov_b64 exec, s[16:17]                                   // 00000000966C: BEFE0110
	v_mov_b32_e32 v6, v98                                      // 000000009670: 7E0C0362
	s_mov_b64 s[52:53], 0                                      // 000000009674: BEB40180
	v_readlane_b32 s72, v3, 4                                  // 000000009678: D2890048 00010903
	s_cmp_lt_u32 s72, s62                                      // 000000009680: BF0A3E48
	s_cselect_b32 s20, s16, s52                                // 000000009684: 85143410
	v_readlane_b32 s72, v3, 5                                  // 000000009688: D2890048 00010B03
	s_cmp_lt_u32 s72, s62                                      // 000000009690: BF0A3E48
	s_cselect_b32 s21, s16, s52                                // 000000009694: 85153410
	s_mov_b64 exec, s[20:21]                                   // 000000009698: BEFE0114
	global_atomic_add_f32 v6, v72, s[8:9]                      // 00000000969C: DD348000 00084806
	global_atomic_add_f32 v6, v76, s[8:9] offset:256           // 0000000096A4: DD348100 00084C06
	s_mov_b64 exec, s[16:17]                                   // 0000000096AC: BEFE0110
	v_mov_b32_e32 v6, v99                                      // 0000000096B0: 7E0C0363
	s_mov_b64 s[52:53], 0                                      // 0000000096B4: BEB40180
	v_readlane_b32 s72, v3, 6                                  // 0000000096B8: D2890048 00010D03
	s_cmp_lt_u32 s72, s62                                      // 0000000096C0: BF0A3E48
	s_cselect_b32 s20, s16, s52                                // 0000000096C4: 85143410
	v_readlane_b32 s72, v3, 7                                  // 0000000096C8: D2890048 00010F03
	s_cmp_lt_u32 s72, s62                                      // 0000000096D0: BF0A3E48
	s_cselect_b32 s21, s16, s52                                // 0000000096D4: 85153410
	s_mov_b64 exec, s[20:21]                                   // 0000000096D8: BEFE0114
	global_atomic_add_f32 v6, v73, s[8:9]                      // 0000000096DC: DD348000 00084906
	global_atomic_add_f32 v6, v77, s[8:9] offset:256           // 0000000096E4: DD348100 00084D06
	s_mov_b64 exec, s[16:17]                                   // 0000000096EC: BEFE0110
	v_mov_b32_e32 v6, v100                                     // 0000000096F0: 7E0C0364
	s_mov_b64 s[52:53], 0                                      // 0000000096F4: BEB40180
	v_readlane_b32 s72, v3, 8                                  // 0000000096F8: D2890048 00011103
	s_cmp_lt_u32 s72, s62                                      // 000000009700: BF0A3E48
	s_cselect_b32 s20, s16, s52                                // 000000009704: 85143410
	v_readlane_b32 s72, v3, 9                                  // 000000009708: D2890048 00011303
	s_cmp_lt_u32 s72, s62                                      // 000000009710: BF0A3E48
	s_cselect_b32 s21, s16, s52                                // 000000009714: 85153410
	s_mov_b64 exec, s[20:21]                                   // 000000009718: BEFE0114
	global_atomic_add_f32 v6, v80, s[8:9]                      // 00000000971C: DD348000 00085006
	global_atomic_add_f32 v6, v84, s[8:9] offset:256           // 000000009724: DD348100 00085406
	s_mov_b64 exec, s[16:17]                                   // 00000000972C: BEFE0110
	v_mov_b32_e32 v6, v101                                     // 000000009730: 7E0C0365
	s_mov_b64 s[52:53], 0                                      // 000000009734: BEB40180
	v_readlane_b32 s72, v3, 10                                 // 000000009738: D2890048 00011503
	s_cmp_lt_u32 s72, s62                                      // 000000009740: BF0A3E48
	s_cselect_b32 s20, s16, s52                                // 000000009744: 85143410
	v_readlane_b32 s72, v3, 11                                 // 000000009748: D2890048 00011703
	s_cmp_lt_u32 s72, s62                                      // 000000009750: BF0A3E48
	s_cselect_b32 s21, s16, s52                                // 000000009754: 85153410
	s_mov_b64 exec, s[20:21]                                   // 000000009758: BEFE0114
	global_atomic_add_f32 v6, v81, s[8:9]                      // 00000000975C: DD348000 00085106
	global_atomic_add_f32 v6, v85, s[8:9] offset:256           // 000000009764: DD348100 00085506
	s_mov_b64 exec, s[16:17]                                   // 00000000976C: BEFE0110
	v_mov_b32_e32 v6, v102                                     // 000000009770: 7E0C0366
	s_mov_b64 s[52:53], 0                                      // 000000009774: BEB40180
	v_readlane_b32 s72, v3, 12                                 // 000000009778: D2890048 00011903
	s_cmp_lt_u32 s72, s62                                      // 000000009780: BF0A3E48
	s_cselect_b32 s20, s16, s52                                // 000000009784: 85143410
	v_readlane_b32 s72, v3, 13                                 // 000000009788: D2890048 00011B03
	s_cmp_lt_u32 s72, s62                                      // 000000009790: BF0A3E48
	s_cselect_b32 s21, s16, s52                                // 000000009794: 85153410
	s_mov_b64 exec, s[20:21]                                   // 000000009798: BEFE0114
	global_atomic_add_f32 v6, v88, s[8:9]                      // 00000000979C: DD348000 00085806
	global_atomic_add_f32 v6, v92, s[8:9] offset:256           // 0000000097A4: DD348100 00085C06
	s_mov_b64 exec, s[16:17]                                   // 0000000097AC: BEFE0110
	v_mov_b32_e32 v6, v103                                     // 0000000097B0: 7E0C0367
	s_mov_b64 s[52:53], 0                                      // 0000000097B4: BEB40180
	v_readlane_b32 s72, v3, 14                                 // 0000000097B8: D2890048 00011D03
	s_cmp_lt_u32 s72, s62                                      // 0000000097C0: BF0A3E48
	s_cselect_b32 s20, s16, s52                                // 0000000097C4: 85143410
	v_readlane_b32 s72, v3, 15                                 // 0000000097C8: D2890048 00011F03
	s_cmp_lt_u32 s72, s62                                      // 0000000097D0: BF0A3E48
	s_cselect_b32 s21, s16, s52                                // 0000000097D4: 85153410
	s_mov_b64 exec, s[20:21]                                   // 0000000097D8: BEFE0114
	global_atomic_add_f32 v6, v89, s[8:9]                      // 0000000097DC: DD348000 00085906
	global_atomic_add_f32 v6, v93, s[8:9] offset:256           // 0000000097E4: DD348100 00085D06
	s_mov_b64 exec, s[16:17]                                   // 0000000097EC: BEFE0110
	v_mov_b32_e32 v6, v104                                     // 0000000097F0: 7E0C0368
	s_mov_b64 s[52:53], 0                                      // 0000000097F4: BEB40180
	v_readlane_b32 s72, v3, 16                                 // 0000000097F8: D2890048 00012103
	s_cmp_lt_u32 s72, s62                                      // 000000009800: BF0A3E48
	s_cselect_b32 s20, s16, s52                                // 000000009804: 85143410
	v_readlane_b32 s72, v3, 17                                 // 000000009808: D2890048 00012303
	s_cmp_lt_u32 s72, s62                                      // 000000009810: BF0A3E48
	s_cselect_b32 s21, s16, s52                                // 000000009814: 85153410
	s_mov_b64 exec, s[20:21]                                   // 000000009818: BEFE0114
	global_atomic_add_f32 v6, v96, s[8:9]                      // 00000000981C: DD348000 00086006
	global_atomic_add_f32 v6, v100, s[8:9] offset:256          // 000000009824: DD348100 00086406
	s_mov_b64 exec, s[16:17]                                   // 00000000982C: BEFE0110
	v_mov_b32_e32 v6, v105                                     // 000000009830: 7E0C0369
	s_mov_b64 s[52:53], 0                                      // 000000009834: BEB40180
	v_readlane_b32 s72, v3, 18                                 // 000000009838: D2890048 00012503
	s_cmp_lt_u32 s72, s62                                      // 000000009840: BF0A3E48
	s_cselect_b32 s20, s16, s52                                // 000000009844: 85143410
	v_readlane_b32 s72, v3, 19                                 // 000000009848: D2890048 00012703
	s_cmp_lt_u32 s72, s62                                      // 000000009850: BF0A3E48
	s_cselect_b32 s21, s16, s52                                // 000000009854: 85153410
	s_mov_b64 exec, s[20:21]                                   // 000000009858: BEFE0114
	global_atomic_add_f32 v6, v97, s[8:9]                      // 00000000985C: DD348000 00086106
	global_atomic_add_f32 v6, v101, s[8:9] offset:256          // 000000009864: DD348100 00086506
	s_mov_b64 exec, s[16:17]                                   // 00000000986C: BEFE0110
	v_mov_b32_e32 v6, v106                                     // 000000009870: 7E0C036A
	s_mov_b64 s[52:53], 0                                      // 000000009874: BEB40180
	v_readlane_b32 s72, v3, 20                                 // 000000009878: D2890048 00012903
	s_cmp_lt_u32 s72, s62                                      // 000000009880: BF0A3E48
	s_cselect_b32 s20, s16, s52                                // 000000009884: 85143410
	v_readlane_b32 s72, v3, 21                                 // 000000009888: D2890048 00012B03
	s_cmp_lt_u32 s72, s62                                      // 000000009890: BF0A3E48
	s_cselect_b32 s21, s16, s52                                // 000000009894: 85153410
	s_mov_b64 exec, s[20:21]                                   // 000000009898: BEFE0114
	global_atomic_add_f32 v6, v104, s[8:9]                     // 00000000989C: DD348000 00086806
	global_atomic_add_f32 v6, v108, s[8:9] offset:256          // 0000000098A4: DD348100 00086C06
	s_mov_b64 exec, s[16:17]                                   // 0000000098AC: BEFE0110
	v_mov_b32_e32 v6, v107                                     // 0000000098B0: 7E0C036B
	s_mov_b64 s[52:53], 0                                      // 0000000098B4: BEB40180
	v_readlane_b32 s72, v3, 22                                 // 0000000098B8: D2890048 00012D03
	s_cmp_lt_u32 s72, s62                                      // 0000000098C0: BF0A3E48
	s_cselect_b32 s20, s16, s52                                // 0000000098C4: 85143410
	v_readlane_b32 s72, v3, 23                                 // 0000000098C8: D2890048 00012F03
	s_cmp_lt_u32 s72, s62                                      // 0000000098D0: BF0A3E48
	s_cselect_b32 s21, s16, s52                                // 0000000098D4: 85153410
	s_mov_b64 exec, s[20:21]                                   // 0000000098D8: BEFE0114
	global_atomic_add_f32 v6, v105, s[8:9]                     // 0000000098DC: DD348000 00086906
	global_atomic_add_f32 v6, v109, s[8:9] offset:256          // 0000000098E4: DD348100 00086D06
	s_mov_b64 exec, s[16:17]                                   // 0000000098EC: BEFE0110
	v_mov_b32_e32 v6, v108                                     // 0000000098F0: 7E0C036C
	s_mov_b64 s[52:53], 0                                      // 0000000098F4: BEB40180
	v_readlane_b32 s72, v3, 24                                 // 0000000098F8: D2890048 00013103
	s_cmp_lt_u32 s72, s62                                      // 000000009900: BF0A3E48
	s_cselect_b32 s20, s16, s52                                // 000000009904: 85143410
	v_readlane_b32 s72, v3, 25                                 // 000000009908: D2890048 00013303
	s_cmp_lt_u32 s72, s62                                      // 000000009910: BF0A3E48
	s_cselect_b32 s21, s16, s52                                // 000000009914: 85153410
	s_mov_b64 exec, s[20:21]                                   // 000000009918: BEFE0114
	global_atomic_add_f32 v6, v112, s[8:9]                     // 00000000991C: DD348000 00087006
	global_atomic_add_f32 v6, v116, s[8:9] offset:256          // 000000009924: DD348100 00087406
	s_mov_b64 exec, s[16:17]                                   // 00000000992C: BEFE0110
	v_mov_b32_e32 v6, v109                                     // 000000009930: 7E0C036D
	s_mov_b64 s[52:53], 0                                      // 000000009934: BEB40180
	v_readlane_b32 s72, v3, 26                                 // 000000009938: D2890048 00013503
	s_cmp_lt_u32 s72, s62                                      // 000000009940: BF0A3E48
	s_cselect_b32 s20, s16, s52                                // 000000009944: 85143410
	v_readlane_b32 s72, v3, 27                                 // 000000009948: D2890048 00013703
	s_cmp_lt_u32 s72, s62                                      // 000000009950: BF0A3E48
	s_cselect_b32 s21, s16, s52                                // 000000009954: 85153410
	s_mov_b64 exec, s[20:21]                                   // 000000009958: BEFE0114
	global_atomic_add_f32 v6, v113, s[8:9]                     // 00000000995C: DD348000 00087106
	global_atomic_add_f32 v6, v117, s[8:9] offset:256          // 000000009964: DD348100 00087506
	s_mov_b64 exec, s[16:17]                                   // 00000000996C: BEFE0110
	v_mov_b32_e32 v6, v110                                     // 000000009970: 7E0C036E
	s_mov_b64 s[52:53], 0                                      // 000000009974: BEB40180
	v_readlane_b32 s72, v3, 28                                 // 000000009978: D2890048 00013903
	s_cmp_lt_u32 s72, s62                                      // 000000009980: BF0A3E48
	s_cselect_b32 s20, s16, s52                                // 000000009984: 85143410
	v_readlane_b32 s72, v3, 29                                 // 000000009988: D2890048 00013B03
	s_cmp_lt_u32 s72, s62                                      // 000000009990: BF0A3E48
	s_cselect_b32 s21, s16, s52                                // 000000009994: 85153410
	s_mov_b64 exec, s[20:21]                                   // 000000009998: BEFE0114
	global_atomic_add_f32 v6, v120, s[8:9]                     // 00000000999C: DD348000 00087806
	global_atomic_add_f32 v6, v124, s[8:9] offset:256          // 0000000099A4: DD348100 00087C06
	s_mov_b64 exec, s[16:17]                                   // 0000000099AC: BEFE0110
	v_mov_b32_e32 v6, v111                                     // 0000000099B0: 7E0C036F
	s_mov_b64 s[52:53], 0                                      // 0000000099B4: BEB40180
	v_readlane_b32 s72, v3, 30                                 // 0000000099B8: D2890048 00013D03
	s_cmp_lt_u32 s72, s62                                      // 0000000099C0: BF0A3E48
	s_cselect_b32 s20, s16, s52                                // 0000000099C4: 85143410
	v_readlane_b32 s72, v3, 31                                 // 0000000099C8: D2890048 00013F03
	s_cmp_lt_u32 s72, s62                                      // 0000000099D0: BF0A3E48
	s_cselect_b32 s21, s16, s52                                // 0000000099D4: 85153410
	s_mov_b64 exec, s[20:21]                                   // 0000000099D8: BEFE0114
	global_atomic_add_f32 v6, v121, s[8:9]                     // 0000000099DC: DD348000 00087906
	global_atomic_add_f32 v6, v125, s[8:9] offset:256          // 0000000099E4: DD348100 00087D06
	s_mov_b64 exec, s[16:17]                                   // 0000000099EC: BEFE0110
	ds_write_b64 v16, v[66:67]                                 // 0000000099F0: D89A0000 00004210
	ds_write_b64 v16, v[70:71] offset:4352                     // 0000000099F8: D89A1100 00004610
	ds_write_b64 v16, v[74:75] offset:8704                     // 000000009A00: D89A2200 00004A10
	ds_write_b64 v16, v[78:79] offset:13056                    // 000000009A08: D89A3300 00004E10
	ds_write_b64 v16, v[82:83] offset:17408                    // 000000009A10: D89A4400 00005210
	ds_write_b64 v16, v[86:87] offset:21760                    // 000000009A18: D89A5500 00005610
	ds_write_b64 v16, v[90:91] offset:26112                    // 000000009A20: D89A6600 00005A10
	ds_write_b64 v16, v[94:95] offset:30464                    // 000000009A28: D89A7700 00005E10
	ds_write_b64 v16, v[98:99] offset:2176                     // 000000009A30: D89A0880 00006210
	ds_write_b64 v16, v[102:103] offset:6528                   // 000000009A38: D89A1980 00006610
	ds_write_b64 v16, v[106:107] offset:10880                  // 000000009A40: D89A2A80 00006A10
	ds_write_b64 v16, v[110:111] offset:15232                  // 000000009A48: D89A3B80 00006E10
	ds_write_b64 v16, v[114:115] offset:19584                  // 000000009A50: D89A4C80 00007210
	ds_write_b64 v16, v[118:119] offset:23936                  // 000000009A58: D89A5D80 00007610
	ds_write_b64 v16, v[122:123] offset:28288                  // 000000009A60: D89A6E80 00007A10
	ds_write_b64 v16, v[126:127] offset:32640                  // 000000009A68: D89A7F80 00007E10
	s_waitcnt lgkmcnt(0)                                       // 000000009A70: BF8CC07F
	s_barrier                                                  // 000000009A74: BF8A0000
	ds_read_b32 v66, v17                                       // 000000009A78: D86C0000 42000011
	ds_read_b32 v67, v17 offset:64                             // 000000009A80: D86C0040 43000011
	ds_read_b32 v70, v17 offset:2176                           // 000000009A88: D86C0880 46000011
	ds_read_b32 v71, v17 offset:2240                           // 000000009A90: D86C08C0 47000011
	ds_read_b32 v74, v17 offset:4352                           // 000000009A98: D86C1100 4A000011
	ds_read_b32 v75, v17 offset:4416                           // 000000009AA0: D86C1140 4B000011
	ds_read_b32 v78, v17 offset:6528                           // 000000009AA8: D86C1980 4E000011
	ds_read_b32 v79, v17 offset:6592                           // 000000009AB0: D86C19C0 4F000011
	ds_read_b32 v82, v17 offset:8704                           // 000000009AB8: D86C2200 52000011
	ds_read_b32 v83, v17 offset:8768                           // 000000009AC0: D86C2240 53000011
	ds_read_b32 v86, v17 offset:10880                          // 000000009AC8: D86C2A80 56000011
	ds_read_b32 v87, v17 offset:10944                          // 000000009AD0: D86C2AC0 57000011
	ds_read_b32 v90, v17 offset:13056                          // 000000009AD8: D86C3300 5A000011
	ds_read_b32 v91, v17 offset:13120                          // 000000009AE0: D86C3340 5B000011
	ds_read_b32 v94, v17 offset:15232                          // 000000009AE8: D86C3B80 5E000011
	ds_read_b32 v95, v17 offset:15296                          // 000000009AF0: D86C3BC0 5F000011
	ds_read_b32 v98, v17 offset:17408                          // 000000009AF8: D86C4400 62000011
	ds_read_b32 v99, v17 offset:17472                          // 000000009B00: D86C4440 63000011
	ds_read_b32 v102, v17 offset:19584                         // 000000009B08: D86C4C80 66000011
	ds_read_b32 v103, v17 offset:19648                         // 000000009B10: D86C4CC0 67000011
	ds_read_b32 v106, v17 offset:21760                         // 000000009B18: D86C5500 6A000011
	ds_read_b32 v107, v17 offset:21824                         // 000000009B20: D86C5540 6B000011
	ds_read_b32 v110, v17 offset:23936                         // 000000009B28: D86C5D80 6E000011
	ds_read_b32 v111, v17 offset:24000                         // 000000009B30: D86C5DC0 6F000011
	ds_read_b32 v114, v17 offset:26112                         // 000000009B38: D86C6600 72000011
	ds_read_b32 v115, v17 offset:26176                         // 000000009B40: D86C6640 73000011
	ds_read_b32 v118, v17 offset:28288                         // 000000009B48: D86C6E80 76000011
	ds_read_b32 v119, v17 offset:28352                         // 000000009B50: D86C6EC0 77000011
	ds_read_b32 v122, v17 offset:30464                         // 000000009B58: D86C7700 7A000011
	ds_read_b32 v123, v17 offset:30528                         // 000000009B60: D86C7740 7B000011
	ds_read_b32 v126, v17 offset:32640                         // 000000009B68: D86C7F80 7E000011
	ds_read_b32 v127, v17 offset:32704                         // 000000009B70: D86C7FC0 7F000011
	s_waitcnt lgkmcnt(0)                                       // 000000009B78: BF8CC07F
	v_mov_b32_e32 v7, 0                                        // 000000009B7C: 7E0E0280
	s_mov_b64 exec, s[16:17]                                   // 000000009B80: BEFE0110
	v_mov_b32_e32 v6, v96                                      // 000000009B84: 7E0C0360
	s_mov_b64 s[52:53], 0                                      // 000000009B88: BEB40180
	v_readlane_b32 s72, v3, 0                                  // 000000009B8C: D2890048 00010103
	s_cmp_lt_u32 s72, s62                                      // 000000009B94: BF0A3E48
	s_cselect_b32 s20, s16, s52                                // 000000009B98: 85143410
	v_readlane_b32 s72, v3, 1                                  // 000000009B9C: D2890048 00010303
	s_cmp_lt_u32 s72, s62                                      // 000000009BA4: BF0A3E48
	s_cselect_b32 s21, s16, s52                                // 000000009BA8: 85153410
	s_mov_b64 exec, s[20:21]                                   // 000000009BAC: BEFE0114
	global_atomic_add_f32 v6, v66, s[8:9] offset:8             // 000000009BB0: DD348008 00084206
	global_atomic_add_f32 v6, v70, s[8:9] offset:264           // 000000009BB8: DD348108 00084606
	s_mov_b64 exec, s[16:17]                                   // 000000009BC0: BEFE0110
	v_mov_b32_e32 v6, v97                                      // 000000009BC4: 7E0C0361
	s_mov_b64 s[52:53], 0                                      // 000000009BC8: BEB40180
	v_readlane_b32 s72, v3, 2                                  // 000000009BCC: D2890048 00010503
	s_cmp_lt_u32 s72, s62                                      // 000000009BD4: BF0A3E48
	s_cselect_b32 s20, s16, s52                                // 000000009BD8: 85143410
	v_readlane_b32 s72, v3, 3                                  // 000000009BDC: D2890048 00010703
	s_cmp_lt_u32 s72, s62                                      // 000000009BE4: BF0A3E48
	s_cselect_b32 s21, s16, s52                                // 000000009BE8: 85153410
	s_mov_b64 exec, s[20:21]                                   // 000000009BEC: BEFE0114
	global_atomic_add_f32 v6, v67, s[8:9] offset:8             // 000000009BF0: DD348008 00084306
	global_atomic_add_f32 v6, v71, s[8:9] offset:264           // 000000009BF8: DD348108 00084706
	s_mov_b64 exec, s[16:17]                                   // 000000009C00: BEFE0110
	v_mov_b32_e32 v6, v98                                      // 000000009C04: 7E0C0362
	s_mov_b64 s[52:53], 0                                      // 000000009C08: BEB40180
	v_readlane_b32 s72, v3, 4                                  // 000000009C0C: D2890048 00010903
	s_cmp_lt_u32 s72, s62                                      // 000000009C14: BF0A3E48
	s_cselect_b32 s20, s16, s52                                // 000000009C18: 85143410
	v_readlane_b32 s72, v3, 5                                  // 000000009C1C: D2890048 00010B03
	s_cmp_lt_u32 s72, s62                                      // 000000009C24: BF0A3E48
	s_cselect_b32 s21, s16, s52                                // 000000009C28: 85153410
	s_mov_b64 exec, s[20:21]                                   // 000000009C2C: BEFE0114
	global_atomic_add_f32 v6, v74, s[8:9] offset:8             // 000000009C30: DD348008 00084A06
	global_atomic_add_f32 v6, v78, s[8:9] offset:264           // 000000009C38: DD348108 00084E06
	s_mov_b64 exec, s[16:17]                                   // 000000009C40: BEFE0110
	v_mov_b32_e32 v6, v99                                      // 000000009C44: 7E0C0363
	s_mov_b64 s[52:53], 0                                      // 000000009C48: BEB40180
	v_readlane_b32 s72, v3, 6                                  // 000000009C4C: D2890048 00010D03
	s_cmp_lt_u32 s72, s62                                      // 000000009C54: BF0A3E48
	s_cselect_b32 s20, s16, s52                                // 000000009C58: 85143410
	v_readlane_b32 s72, v3, 7                                  // 000000009C5C: D2890048 00010F03
	s_cmp_lt_u32 s72, s62                                      // 000000009C64: BF0A3E48
	s_cselect_b32 s21, s16, s52                                // 000000009C68: 85153410
	s_mov_b64 exec, s[20:21]                                   // 000000009C6C: BEFE0114
	global_atomic_add_f32 v6, v75, s[8:9] offset:8             // 000000009C70: DD348008 00084B06
	global_atomic_add_f32 v6, v79, s[8:9] offset:264           // 000000009C78: DD348108 00084F06
	s_mov_b64 exec, s[16:17]                                   // 000000009C80: BEFE0110
	v_mov_b32_e32 v6, v100                                     // 000000009C84: 7E0C0364
	s_mov_b64 s[52:53], 0                                      // 000000009C88: BEB40180
	v_readlane_b32 s72, v3, 8                                  // 000000009C8C: D2890048 00011103
	s_cmp_lt_u32 s72, s62                                      // 000000009C94: BF0A3E48
	s_cselect_b32 s20, s16, s52                                // 000000009C98: 85143410
	v_readlane_b32 s72, v3, 9                                  // 000000009C9C: D2890048 00011303
	s_cmp_lt_u32 s72, s62                                      // 000000009CA4: BF0A3E48
	s_cselect_b32 s21, s16, s52                                // 000000009CA8: 85153410
	s_mov_b64 exec, s[20:21]                                   // 000000009CAC: BEFE0114
	global_atomic_add_f32 v6, v82, s[8:9] offset:8             // 000000009CB0: DD348008 00085206
	global_atomic_add_f32 v6, v86, s[8:9] offset:264           // 000000009CB8: DD348108 00085606
	s_mov_b64 exec, s[16:17]                                   // 000000009CC0: BEFE0110
	v_mov_b32_e32 v6, v101                                     // 000000009CC4: 7E0C0365
	s_mov_b64 s[52:53], 0                                      // 000000009CC8: BEB40180
	v_readlane_b32 s72, v3, 10                                 // 000000009CCC: D2890048 00011503
	s_cmp_lt_u32 s72, s62                                      // 000000009CD4: BF0A3E48
	s_cselect_b32 s20, s16, s52                                // 000000009CD8: 85143410
	v_readlane_b32 s72, v3, 11                                 // 000000009CDC: D2890048 00011703
	s_cmp_lt_u32 s72, s62                                      // 000000009CE4: BF0A3E48
	s_cselect_b32 s21, s16, s52                                // 000000009CE8: 85153410
	s_mov_b64 exec, s[20:21]                                   // 000000009CEC: BEFE0114
	global_atomic_add_f32 v6, v83, s[8:9] offset:8             // 000000009CF0: DD348008 00085306
	global_atomic_add_f32 v6, v87, s[8:9] offset:264           // 000000009CF8: DD348108 00085706
	s_mov_b64 exec, s[16:17]                                   // 000000009D00: BEFE0110
	v_mov_b32_e32 v6, v102                                     // 000000009D04: 7E0C0366
	s_mov_b64 s[52:53], 0                                      // 000000009D08: BEB40180
	v_readlane_b32 s72, v3, 12                                 // 000000009D0C: D2890048 00011903
	s_cmp_lt_u32 s72, s62                                      // 000000009D14: BF0A3E48
	s_cselect_b32 s20, s16, s52                                // 000000009D18: 85143410
	v_readlane_b32 s72, v3, 13                                 // 000000009D1C: D2890048 00011B03
	s_cmp_lt_u32 s72, s62                                      // 000000009D24: BF0A3E48
	s_cselect_b32 s21, s16, s52                                // 000000009D28: 85153410
	s_mov_b64 exec, s[20:21]                                   // 000000009D2C: BEFE0114
	global_atomic_add_f32 v6, v90, s[8:9] offset:8             // 000000009D30: DD348008 00085A06
	global_atomic_add_f32 v6, v94, s[8:9] offset:264           // 000000009D38: DD348108 00085E06
	s_mov_b64 exec, s[16:17]                                   // 000000009D40: BEFE0110
	v_mov_b32_e32 v6, v103                                     // 000000009D44: 7E0C0367
	s_mov_b64 s[52:53], 0                                      // 000000009D48: BEB40180
	v_readlane_b32 s72, v3, 14                                 // 000000009D4C: D2890048 00011D03
	s_cmp_lt_u32 s72, s62                                      // 000000009D54: BF0A3E48
	s_cselect_b32 s20, s16, s52                                // 000000009D58: 85143410
	v_readlane_b32 s72, v3, 15                                 // 000000009D5C: D2890048 00011F03
	s_cmp_lt_u32 s72, s62                                      // 000000009D64: BF0A3E48
	s_cselect_b32 s21, s16, s52                                // 000000009D68: 85153410
	s_mov_b64 exec, s[20:21]                                   // 000000009D6C: BEFE0114
	global_atomic_add_f32 v6, v91, s[8:9] offset:8             // 000000009D70: DD348008 00085B06
	global_atomic_add_f32 v6, v95, s[8:9] offset:264           // 000000009D78: DD348108 00085F06
	s_mov_b64 exec, s[16:17]                                   // 000000009D80: BEFE0110
	v_mov_b32_e32 v6, v104                                     // 000000009D84: 7E0C0368
	s_mov_b64 s[52:53], 0                                      // 000000009D88: BEB40180
	v_readlane_b32 s72, v3, 16                                 // 000000009D8C: D2890048 00012103
	s_cmp_lt_u32 s72, s62                                      // 000000009D94: BF0A3E48
	s_cselect_b32 s20, s16, s52                                // 000000009D98: 85143410
	v_readlane_b32 s72, v3, 17                                 // 000000009D9C: D2890048 00012303
	s_cmp_lt_u32 s72, s62                                      // 000000009DA4: BF0A3E48
	s_cselect_b32 s21, s16, s52                                // 000000009DA8: 85153410
	s_mov_b64 exec, s[20:21]                                   // 000000009DAC: BEFE0114
	global_atomic_add_f32 v6, v98, s[8:9] offset:8             // 000000009DB0: DD348008 00086206
	global_atomic_add_f32 v6, v102, s[8:9] offset:264          // 000000009DB8: DD348108 00086606
	s_mov_b64 exec, s[16:17]                                   // 000000009DC0: BEFE0110
	v_mov_b32_e32 v6, v105                                     // 000000009DC4: 7E0C0369
	s_mov_b64 s[52:53], 0                                      // 000000009DC8: BEB40180
	v_readlane_b32 s72, v3, 18                                 // 000000009DCC: D2890048 00012503
	s_cmp_lt_u32 s72, s62                                      // 000000009DD4: BF0A3E48
	s_cselect_b32 s20, s16, s52                                // 000000009DD8: 85143410
	v_readlane_b32 s72, v3, 19                                 // 000000009DDC: D2890048 00012703
	s_cmp_lt_u32 s72, s62                                      // 000000009DE4: BF0A3E48
	s_cselect_b32 s21, s16, s52                                // 000000009DE8: 85153410
	s_mov_b64 exec, s[20:21]                                   // 000000009DEC: BEFE0114
	global_atomic_add_f32 v6, v99, s[8:9] offset:8             // 000000009DF0: DD348008 00086306
	global_atomic_add_f32 v6, v103, s[8:9] offset:264          // 000000009DF8: DD348108 00086706
	s_mov_b64 exec, s[16:17]                                   // 000000009E00: BEFE0110
	v_mov_b32_e32 v6, v106                                     // 000000009E04: 7E0C036A
	s_mov_b64 s[52:53], 0                                      // 000000009E08: BEB40180
	v_readlane_b32 s72, v3, 20                                 // 000000009E0C: D2890048 00012903
	s_cmp_lt_u32 s72, s62                                      // 000000009E14: BF0A3E48
	s_cselect_b32 s20, s16, s52                                // 000000009E18: 85143410
	v_readlane_b32 s72, v3, 21                                 // 000000009E1C: D2890048 00012B03
	s_cmp_lt_u32 s72, s62                                      // 000000009E24: BF0A3E48
	s_cselect_b32 s21, s16, s52                                // 000000009E28: 85153410
	s_mov_b64 exec, s[20:21]                                   // 000000009E2C: BEFE0114
	global_atomic_add_f32 v6, v106, s[8:9] offset:8            // 000000009E30: DD348008 00086A06
	global_atomic_add_f32 v6, v110, s[8:9] offset:264          // 000000009E38: DD348108 00086E06
	s_mov_b64 exec, s[16:17]                                   // 000000009E40: BEFE0110
	v_mov_b32_e32 v6, v107                                     // 000000009E44: 7E0C036B
	s_mov_b64 s[52:53], 0                                      // 000000009E48: BEB40180
	v_readlane_b32 s72, v3, 22                                 // 000000009E4C: D2890048 00012D03
	s_cmp_lt_u32 s72, s62                                      // 000000009E54: BF0A3E48
	s_cselect_b32 s20, s16, s52                                // 000000009E58: 85143410
	v_readlane_b32 s72, v3, 23                                 // 000000009E5C: D2890048 00012F03
	s_cmp_lt_u32 s72, s62                                      // 000000009E64: BF0A3E48
	s_cselect_b32 s21, s16, s52                                // 000000009E68: 85153410
	s_mov_b64 exec, s[20:21]                                   // 000000009E6C: BEFE0114
	global_atomic_add_f32 v6, v107, s[8:9] offset:8            // 000000009E70: DD348008 00086B06
	global_atomic_add_f32 v6, v111, s[8:9] offset:264          // 000000009E78: DD348108 00086F06
	s_mov_b64 exec, s[16:17]                                   // 000000009E80: BEFE0110
	v_mov_b32_e32 v6, v108                                     // 000000009E84: 7E0C036C
	s_mov_b64 s[52:53], 0                                      // 000000009E88: BEB40180
	v_readlane_b32 s72, v3, 24                                 // 000000009E8C: D2890048 00013103
	s_cmp_lt_u32 s72, s62                                      // 000000009E94: BF0A3E48
	s_cselect_b32 s20, s16, s52                                // 000000009E98: 85143410
	v_readlane_b32 s72, v3, 25                                 // 000000009E9C: D2890048 00013303
	s_cmp_lt_u32 s72, s62                                      // 000000009EA4: BF0A3E48
	s_cselect_b32 s21, s16, s52                                // 000000009EA8: 85153410
	s_mov_b64 exec, s[20:21]                                   // 000000009EAC: BEFE0114
	global_atomic_add_f32 v6, v114, s[8:9] offset:8            // 000000009EB0: DD348008 00087206
	global_atomic_add_f32 v6, v118, s[8:9] offset:264          // 000000009EB8: DD348108 00087606
	s_mov_b64 exec, s[16:17]                                   // 000000009EC0: BEFE0110
	v_mov_b32_e32 v6, v109                                     // 000000009EC4: 7E0C036D
	s_mov_b64 s[52:53], 0                                      // 000000009EC8: BEB40180
	v_readlane_b32 s72, v3, 26                                 // 000000009ECC: D2890048 00013503
	s_cmp_lt_u32 s72, s62                                      // 000000009ED4: BF0A3E48
	s_cselect_b32 s20, s16, s52                                // 000000009ED8: 85143410
	v_readlane_b32 s72, v3, 27                                 // 000000009EDC: D2890048 00013703
	s_cmp_lt_u32 s72, s62                                      // 000000009EE4: BF0A3E48
	s_cselect_b32 s21, s16, s52                                // 000000009EE8: 85153410
	s_mov_b64 exec, s[20:21]                                   // 000000009EEC: BEFE0114
	global_atomic_add_f32 v6, v115, s[8:9] offset:8            // 000000009EF0: DD348008 00087306
	global_atomic_add_f32 v6, v119, s[8:9] offset:264          // 000000009EF8: DD348108 00087706
	s_mov_b64 exec, s[16:17]                                   // 000000009F00: BEFE0110
	v_mov_b32_e32 v6, v110                                     // 000000009F04: 7E0C036E
	s_mov_b64 s[52:53], 0                                      // 000000009F08: BEB40180
	v_readlane_b32 s72, v3, 28                                 // 000000009F0C: D2890048 00013903
	s_cmp_lt_u32 s72, s62                                      // 000000009F14: BF0A3E48
	s_cselect_b32 s20, s16, s52                                // 000000009F18: 85143410
	v_readlane_b32 s72, v3, 29                                 // 000000009F1C: D2890048 00013B03
	s_cmp_lt_u32 s72, s62                                      // 000000009F24: BF0A3E48
	s_cselect_b32 s21, s16, s52                                // 000000009F28: 85153410
	s_mov_b64 exec, s[20:21]                                   // 000000009F2C: BEFE0114
	global_atomic_add_f32 v6, v122, s[8:9] offset:8            // 000000009F30: DD348008 00087A06
	global_atomic_add_f32 v6, v126, s[8:9] offset:264          // 000000009F38: DD348108 00087E06
	s_mov_b64 exec, s[16:17]                                   // 000000009F40: BEFE0110
	v_mov_b32_e32 v6, v111                                     // 000000009F44: 7E0C036F
	s_mov_b64 s[52:53], 0                                      // 000000009F48: BEB40180
	v_readlane_b32 s72, v3, 30                                 // 000000009F4C: D2890048 00013D03
	s_cmp_lt_u32 s72, s62                                      // 000000009F54: BF0A3E48
	s_cselect_b32 s20, s16, s52                                // 000000009F58: 85143410
	v_readlane_b32 s72, v3, 31                                 // 000000009F5C: D2890048 00013F03
	s_cmp_lt_u32 s72, s62                                      // 000000009F64: BF0A3E48
	s_cselect_b32 s21, s16, s52                                // 000000009F68: 85153410
	s_mov_b64 exec, s[20:21]                                   // 000000009F6C: BEFE0114
	global_atomic_add_f32 v6, v123, s[8:9] offset:8            // 000000009F70: DD348008 00087B06
	global_atomic_add_f32 v6, v127, s[8:9] offset:264          // 000000009F78: DD348108 00087F06
	s_mov_b64 exec, s[16:17]                                   // 000000009F80: BEFE0110
	ds_write_b64 v16, v[128:129]                               // 000000009F84: D89A0000 00008010
	ds_write_b64 v16, v[132:133] offset:4352                   // 000000009F8C: D89A1100 00008410
	ds_write_b64 v16, v[136:137] offset:8704                   // 000000009F94: D89A2200 00008810
	ds_write_b64 v16, v[140:141] offset:13056                  // 000000009F9C: D89A3300 00008C10
	ds_write_b64 v16, v[144:145] offset:17408                  // 000000009FA4: D89A4400 00009010
	ds_write_b64 v16, v[148:149] offset:21760                  // 000000009FAC: D89A5500 00009410
	ds_write_b64 v16, v[152:153] offset:26112                  // 000000009FB4: D89A6600 00009810
	ds_write_b64 v16, v[156:157] offset:30464                  // 000000009FBC: D89A7700 00009C10
	ds_write_b64 v16, v[160:161] offset:2176                   // 000000009FC4: D89A0880 0000A010
	ds_write_b64 v16, v[164:165] offset:6528                   // 000000009FCC: D89A1980 0000A410
	ds_write_b64 v16, v[168:169] offset:10880                  // 000000009FD4: D89A2A80 0000A810
	ds_write_b64 v16, v[172:173] offset:15232                  // 000000009FDC: D89A3B80 0000AC10
	ds_write_b64 v16, v[176:177] offset:19584                  // 000000009FE4: D89A4C80 0000B010
	ds_write_b64 v16, v[180:181] offset:23936                  // 000000009FEC: D89A5D80 0000B410
	ds_write_b64 v16, v[184:185] offset:28288                  // 000000009FF4: D89A6E80 0000B810
	ds_write_b64 v16, v[188:189] offset:32640                  // 000000009FFC: D89A7F80 0000BC10
	s_waitcnt lgkmcnt(0)                                       // 00000000A004: BF8CC07F
	s_barrier                                                  // 00000000A008: BF8A0000
	ds_read_b32 v128, v17                                      // 00000000A00C: D86C0000 80000011
	ds_read_b32 v129, v17 offset:64                            // 00000000A014: D86C0040 81000011
	ds_read_b32 v132, v17 offset:2176                          // 00000000A01C: D86C0880 84000011
	ds_read_b32 v133, v17 offset:2240                          // 00000000A024: D86C08C0 85000011
	ds_read_b32 v136, v17 offset:4352                          // 00000000A02C: D86C1100 88000011
	ds_read_b32 v137, v17 offset:4416                          // 00000000A034: D86C1140 89000011
	ds_read_b32 v140, v17 offset:6528                          // 00000000A03C: D86C1980 8C000011
	ds_read_b32 v141, v17 offset:6592                          // 00000000A044: D86C19C0 8D000011
	ds_read_b32 v144, v17 offset:8704                          // 00000000A04C: D86C2200 90000011
	ds_read_b32 v145, v17 offset:8768                          // 00000000A054: D86C2240 91000011
	ds_read_b32 v148, v17 offset:10880                         // 00000000A05C: D86C2A80 94000011
	ds_read_b32 v149, v17 offset:10944                         // 00000000A064: D86C2AC0 95000011
	ds_read_b32 v152, v17 offset:13056                         // 00000000A06C: D86C3300 98000011
	ds_read_b32 v153, v17 offset:13120                         // 00000000A074: D86C3340 99000011
	ds_read_b32 v156, v17 offset:15232                         // 00000000A07C: D86C3B80 9C000011
	ds_read_b32 v157, v17 offset:15296                         // 00000000A084: D86C3BC0 9D000011
	ds_read_b32 v160, v17 offset:17408                         // 00000000A08C: D86C4400 A0000011
	ds_read_b32 v161, v17 offset:17472                         // 00000000A094: D86C4440 A1000011
	ds_read_b32 v164, v17 offset:19584                         // 00000000A09C: D86C4C80 A4000011
	ds_read_b32 v165, v17 offset:19648                         // 00000000A0A4: D86C4CC0 A5000011
	ds_read_b32 v168, v17 offset:21760                         // 00000000A0AC: D86C5500 A8000011
	ds_read_b32 v169, v17 offset:21824                         // 00000000A0B4: D86C5540 A9000011
	ds_read_b32 v172, v17 offset:23936                         // 00000000A0BC: D86C5D80 AC000011
	ds_read_b32 v173, v17 offset:24000                         // 00000000A0C4: D86C5DC0 AD000011
	ds_read_b32 v176, v17 offset:26112                         // 00000000A0CC: D86C6600 B0000011
	ds_read_b32 v177, v17 offset:26176                         // 00000000A0D4: D86C6640 B1000011
	ds_read_b32 v180, v17 offset:28288                         // 00000000A0DC: D86C6E80 B4000011
	ds_read_b32 v181, v17 offset:28352                         // 00000000A0E4: D86C6EC0 B5000011
	ds_read_b32 v184, v17 offset:30464                         // 00000000A0EC: D86C7700 B8000011
	ds_read_b32 v185, v17 offset:30528                         // 00000000A0F4: D86C7740 B9000011
	ds_read_b32 v188, v17 offset:32640                         // 00000000A0FC: D86C7F80 BC000011
	ds_read_b32 v189, v17 offset:32704                         // 00000000A104: D86C7FC0 BD000011
	s_mul_i32 s52, s61, 4                                      // 00000000A10C: 9234843D
	s_add_u32 s8, s52, s8                                      // 00000000A110: 80080834
	s_addc_u32 s9, 0, s9                                       // 00000000A114: 82090980
	s_waitcnt lgkmcnt(0)                                       // 00000000A118: BF8CC07F
	v_mov_b32_e32 v7, 0                                        // 00000000A11C: 7E0E0280
	s_mov_b64 exec, s[16:17]                                   // 00000000A120: BEFE0110
	v_mov_b32_e32 v6, v96                                      // 00000000A124: 7E0C0360
	s_mov_b64 s[52:53], 0                                      // 00000000A128: BEB40180
	v_readlane_b32 s72, v3, 0                                  // 00000000A12C: D2890048 00010103
	s_cmp_lt_u32 s72, s62                                      // 00000000A134: BF0A3E48
	s_cselect_b32 s20, s16, s52                                // 00000000A138: 85143410
	v_readlane_b32 s72, v3, 1                                  // 00000000A13C: D2890048 00010303
	s_cmp_lt_u32 s72, s62                                      // 00000000A144: BF0A3E48
	s_cselect_b32 s21, s16, s52                                // 00000000A148: 85153410
	s_mov_b64 exec, s[20:21]                                   // 00000000A14C: BEFE0114
	global_atomic_add_f32 v6, v128, s[8:9]                     // 00000000A150: DD348000 00088006
	global_atomic_add_f32 v6, v132, s[8:9] offset:256          // 00000000A158: DD348100 00088406
	s_mov_b64 exec, s[16:17]                                   // 00000000A160: BEFE0110
	v_mov_b32_e32 v6, v97                                      // 00000000A164: 7E0C0361
	s_mov_b64 s[52:53], 0                                      // 00000000A168: BEB40180
	v_readlane_b32 s72, v3, 2                                  // 00000000A16C: D2890048 00010503
	s_cmp_lt_u32 s72, s62                                      // 00000000A174: BF0A3E48
	s_cselect_b32 s20, s16, s52                                // 00000000A178: 85143410
	v_readlane_b32 s72, v3, 3                                  // 00000000A17C: D2890048 00010703
	s_cmp_lt_u32 s72, s62                                      // 00000000A184: BF0A3E48
	s_cselect_b32 s21, s16, s52                                // 00000000A188: 85153410
	s_mov_b64 exec, s[20:21]                                   // 00000000A18C: BEFE0114
	global_atomic_add_f32 v6, v129, s[8:9]                     // 00000000A190: DD348000 00088106
	global_atomic_add_f32 v6, v133, s[8:9] offset:256          // 00000000A198: DD348100 00088506
	s_mov_b64 exec, s[16:17]                                   // 00000000A1A0: BEFE0110
	v_mov_b32_e32 v6, v98                                      // 00000000A1A4: 7E0C0362
	s_mov_b64 s[52:53], 0                                      // 00000000A1A8: BEB40180
	v_readlane_b32 s72, v3, 4                                  // 00000000A1AC: D2890048 00010903
	s_cmp_lt_u32 s72, s62                                      // 00000000A1B4: BF0A3E48
	s_cselect_b32 s20, s16, s52                                // 00000000A1B8: 85143410
	v_readlane_b32 s72, v3, 5                                  // 00000000A1BC: D2890048 00010B03
	s_cmp_lt_u32 s72, s62                                      // 00000000A1C4: BF0A3E48
	s_cselect_b32 s21, s16, s52                                // 00000000A1C8: 85153410
	s_mov_b64 exec, s[20:21]                                   // 00000000A1CC: BEFE0114
	global_atomic_add_f32 v6, v136, s[8:9]                     // 00000000A1D0: DD348000 00088806
	global_atomic_add_f32 v6, v140, s[8:9] offset:256          // 00000000A1D8: DD348100 00088C06
	s_mov_b64 exec, s[16:17]                                   // 00000000A1E0: BEFE0110
	v_mov_b32_e32 v6, v99                                      // 00000000A1E4: 7E0C0363
	s_mov_b64 s[52:53], 0                                      // 00000000A1E8: BEB40180
	v_readlane_b32 s72, v3, 6                                  // 00000000A1EC: D2890048 00010D03
	s_cmp_lt_u32 s72, s62                                      // 00000000A1F4: BF0A3E48
	s_cselect_b32 s20, s16, s52                                // 00000000A1F8: 85143410
	v_readlane_b32 s72, v3, 7                                  // 00000000A1FC: D2890048 00010F03
	s_cmp_lt_u32 s72, s62                                      // 00000000A204: BF0A3E48
	s_cselect_b32 s21, s16, s52                                // 00000000A208: 85153410
	s_mov_b64 exec, s[20:21]                                   // 00000000A20C: BEFE0114
	global_atomic_add_f32 v6, v137, s[8:9]                     // 00000000A210: DD348000 00088906
	global_atomic_add_f32 v6, v141, s[8:9] offset:256          // 00000000A218: DD348100 00088D06
	s_mov_b64 exec, s[16:17]                                   // 00000000A220: BEFE0110
	v_mov_b32_e32 v6, v100                                     // 00000000A224: 7E0C0364
	s_mov_b64 s[52:53], 0                                      // 00000000A228: BEB40180
	v_readlane_b32 s72, v3, 8                                  // 00000000A22C: D2890048 00011103
	s_cmp_lt_u32 s72, s62                                      // 00000000A234: BF0A3E48
	s_cselect_b32 s20, s16, s52                                // 00000000A238: 85143410
	v_readlane_b32 s72, v3, 9                                  // 00000000A23C: D2890048 00011303
	s_cmp_lt_u32 s72, s62                                      // 00000000A244: BF0A3E48
	s_cselect_b32 s21, s16, s52                                // 00000000A248: 85153410
	s_mov_b64 exec, s[20:21]                                   // 00000000A24C: BEFE0114
	global_atomic_add_f32 v6, v144, s[8:9]                     // 00000000A250: DD348000 00089006
	global_atomic_add_f32 v6, v148, s[8:9] offset:256          // 00000000A258: DD348100 00089406
	s_mov_b64 exec, s[16:17]                                   // 00000000A260: BEFE0110
	v_mov_b32_e32 v6, v101                                     // 00000000A264: 7E0C0365
	s_mov_b64 s[52:53], 0                                      // 00000000A268: BEB40180
	v_readlane_b32 s72, v3, 10                                 // 00000000A26C: D2890048 00011503
	s_cmp_lt_u32 s72, s62                                      // 00000000A274: BF0A3E48
	s_cselect_b32 s20, s16, s52                                // 00000000A278: 85143410
	v_readlane_b32 s72, v3, 11                                 // 00000000A27C: D2890048 00011703
	s_cmp_lt_u32 s72, s62                                      // 00000000A284: BF0A3E48
	s_cselect_b32 s21, s16, s52                                // 00000000A288: 85153410
	s_mov_b64 exec, s[20:21]                                   // 00000000A28C: BEFE0114
	global_atomic_add_f32 v6, v145, s[8:9]                     // 00000000A290: DD348000 00089106
	global_atomic_add_f32 v6, v149, s[8:9] offset:256          // 00000000A298: DD348100 00089506
	s_mov_b64 exec, s[16:17]                                   // 00000000A2A0: BEFE0110
	v_mov_b32_e32 v6, v102                                     // 00000000A2A4: 7E0C0366
	s_mov_b64 s[52:53], 0                                      // 00000000A2A8: BEB40180
	v_readlane_b32 s72, v3, 12                                 // 00000000A2AC: D2890048 00011903
	s_cmp_lt_u32 s72, s62                                      // 00000000A2B4: BF0A3E48
	s_cselect_b32 s20, s16, s52                                // 00000000A2B8: 85143410
	v_readlane_b32 s72, v3, 13                                 // 00000000A2BC: D2890048 00011B03
	s_cmp_lt_u32 s72, s62                                      // 00000000A2C4: BF0A3E48
	s_cselect_b32 s21, s16, s52                                // 00000000A2C8: 85153410
	s_mov_b64 exec, s[20:21]                                   // 00000000A2CC: BEFE0114
	global_atomic_add_f32 v6, v152, s[8:9]                     // 00000000A2D0: DD348000 00089806
	global_atomic_add_f32 v6, v156, s[8:9] offset:256          // 00000000A2D8: DD348100 00089C06
	s_mov_b64 exec, s[16:17]                                   // 00000000A2E0: BEFE0110
	v_mov_b32_e32 v6, v103                                     // 00000000A2E4: 7E0C0367
	s_mov_b64 s[52:53], 0                                      // 00000000A2E8: BEB40180
	v_readlane_b32 s72, v3, 14                                 // 00000000A2EC: D2890048 00011D03
	s_cmp_lt_u32 s72, s62                                      // 00000000A2F4: BF0A3E48
	s_cselect_b32 s20, s16, s52                                // 00000000A2F8: 85143410
	v_readlane_b32 s72, v3, 15                                 // 00000000A2FC: D2890048 00011F03
	s_cmp_lt_u32 s72, s62                                      // 00000000A304: BF0A3E48
	s_cselect_b32 s21, s16, s52                                // 00000000A308: 85153410
	s_mov_b64 exec, s[20:21]                                   // 00000000A30C: BEFE0114
	global_atomic_add_f32 v6, v153, s[8:9]                     // 00000000A310: DD348000 00089906
	global_atomic_add_f32 v6, v157, s[8:9] offset:256          // 00000000A318: DD348100 00089D06
	s_mov_b64 exec, s[16:17]                                   // 00000000A320: BEFE0110
	v_mov_b32_e32 v6, v104                                     // 00000000A324: 7E0C0368
	s_mov_b64 s[52:53], 0                                      // 00000000A328: BEB40180
	v_readlane_b32 s72, v3, 16                                 // 00000000A32C: D2890048 00012103
	s_cmp_lt_u32 s72, s62                                      // 00000000A334: BF0A3E48
	s_cselect_b32 s20, s16, s52                                // 00000000A338: 85143410
	v_readlane_b32 s72, v3, 17                                 // 00000000A33C: D2890048 00012303
	s_cmp_lt_u32 s72, s62                                      // 00000000A344: BF0A3E48
	s_cselect_b32 s21, s16, s52                                // 00000000A348: 85153410
	s_mov_b64 exec, s[20:21]                                   // 00000000A34C: BEFE0114
	global_atomic_add_f32 v6, v160, s[8:9]                     // 00000000A350: DD348000 0008A006
	global_atomic_add_f32 v6, v164, s[8:9] offset:256          // 00000000A358: DD348100 0008A406
	s_mov_b64 exec, s[16:17]                                   // 00000000A360: BEFE0110
	v_mov_b32_e32 v6, v105                                     // 00000000A364: 7E0C0369
	s_mov_b64 s[52:53], 0                                      // 00000000A368: BEB40180
	v_readlane_b32 s72, v3, 18                                 // 00000000A36C: D2890048 00012503
	s_cmp_lt_u32 s72, s62                                      // 00000000A374: BF0A3E48
	s_cselect_b32 s20, s16, s52                                // 00000000A378: 85143410
	v_readlane_b32 s72, v3, 19                                 // 00000000A37C: D2890048 00012703
	s_cmp_lt_u32 s72, s62                                      // 00000000A384: BF0A3E48
	s_cselect_b32 s21, s16, s52                                // 00000000A388: 85153410
	s_mov_b64 exec, s[20:21]                                   // 00000000A38C: BEFE0114
	global_atomic_add_f32 v6, v161, s[8:9]                     // 00000000A390: DD348000 0008A106
	global_atomic_add_f32 v6, v165, s[8:9] offset:256          // 00000000A398: DD348100 0008A506
	s_mov_b64 exec, s[16:17]                                   // 00000000A3A0: BEFE0110
	v_mov_b32_e32 v6, v106                                     // 00000000A3A4: 7E0C036A
	s_mov_b64 s[52:53], 0                                      // 00000000A3A8: BEB40180
	v_readlane_b32 s72, v3, 20                                 // 00000000A3AC: D2890048 00012903
	s_cmp_lt_u32 s72, s62                                      // 00000000A3B4: BF0A3E48
	s_cselect_b32 s20, s16, s52                                // 00000000A3B8: 85143410
	v_readlane_b32 s72, v3, 21                                 // 00000000A3BC: D2890048 00012B03
	s_cmp_lt_u32 s72, s62                                      // 00000000A3C4: BF0A3E48
	s_cselect_b32 s21, s16, s52                                // 00000000A3C8: 85153410
	s_mov_b64 exec, s[20:21]                                   // 00000000A3CC: BEFE0114
	global_atomic_add_f32 v6, v168, s[8:9]                     // 00000000A3D0: DD348000 0008A806
	global_atomic_add_f32 v6, v172, s[8:9] offset:256          // 00000000A3D8: DD348100 0008AC06
	s_mov_b64 exec, s[16:17]                                   // 00000000A3E0: BEFE0110
	v_mov_b32_e32 v6, v107                                     // 00000000A3E4: 7E0C036B
	s_mov_b64 s[52:53], 0                                      // 00000000A3E8: BEB40180
	v_readlane_b32 s72, v3, 22                                 // 00000000A3EC: D2890048 00012D03
	s_cmp_lt_u32 s72, s62                                      // 00000000A3F4: BF0A3E48
	s_cselect_b32 s20, s16, s52                                // 00000000A3F8: 85143410
	v_readlane_b32 s72, v3, 23                                 // 00000000A3FC: D2890048 00012F03
	s_cmp_lt_u32 s72, s62                                      // 00000000A404: BF0A3E48
	s_cselect_b32 s21, s16, s52                                // 00000000A408: 85153410
	s_mov_b64 exec, s[20:21]                                   // 00000000A40C: BEFE0114
	global_atomic_add_f32 v6, v169, s[8:9]                     // 00000000A410: DD348000 0008A906
	global_atomic_add_f32 v6, v173, s[8:9] offset:256          // 00000000A418: DD348100 0008AD06
	s_mov_b64 exec, s[16:17]                                   // 00000000A420: BEFE0110
	v_mov_b32_e32 v6, v108                                     // 00000000A424: 7E0C036C
	s_mov_b64 s[52:53], 0                                      // 00000000A428: BEB40180
	v_readlane_b32 s72, v3, 24                                 // 00000000A42C: D2890048 00013103
	s_cmp_lt_u32 s72, s62                                      // 00000000A434: BF0A3E48
	s_cselect_b32 s20, s16, s52                                // 00000000A438: 85143410
	v_readlane_b32 s72, v3, 25                                 // 00000000A43C: D2890048 00013303
	s_cmp_lt_u32 s72, s62                                      // 00000000A444: BF0A3E48
	s_cselect_b32 s21, s16, s52                                // 00000000A448: 85153410
	s_mov_b64 exec, s[20:21]                                   // 00000000A44C: BEFE0114
	global_atomic_add_f32 v6, v176, s[8:9]                     // 00000000A450: DD348000 0008B006
	global_atomic_add_f32 v6, v180, s[8:9] offset:256          // 00000000A458: DD348100 0008B406
	s_mov_b64 exec, s[16:17]                                   // 00000000A460: BEFE0110
	v_mov_b32_e32 v6, v109                                     // 00000000A464: 7E0C036D
	s_mov_b64 s[52:53], 0                                      // 00000000A468: BEB40180
	v_readlane_b32 s72, v3, 26                                 // 00000000A46C: D2890048 00013503
	s_cmp_lt_u32 s72, s62                                      // 00000000A474: BF0A3E48
	s_cselect_b32 s20, s16, s52                                // 00000000A478: 85143410
	v_readlane_b32 s72, v3, 27                                 // 00000000A47C: D2890048 00013703
	s_cmp_lt_u32 s72, s62                                      // 00000000A484: BF0A3E48
	s_cselect_b32 s21, s16, s52                                // 00000000A488: 85153410
	s_mov_b64 exec, s[20:21]                                   // 00000000A48C: BEFE0114
	global_atomic_add_f32 v6, v177, s[8:9]                     // 00000000A490: DD348000 0008B106
	global_atomic_add_f32 v6, v181, s[8:9] offset:256          // 00000000A498: DD348100 0008B506
	s_mov_b64 exec, s[16:17]                                   // 00000000A4A0: BEFE0110
	v_mov_b32_e32 v6, v110                                     // 00000000A4A4: 7E0C036E
	s_mov_b64 s[52:53], 0                                      // 00000000A4A8: BEB40180
	v_readlane_b32 s72, v3, 28                                 // 00000000A4AC: D2890048 00013903
	s_cmp_lt_u32 s72, s62                                      // 00000000A4B4: BF0A3E48
	s_cselect_b32 s20, s16, s52                                // 00000000A4B8: 85143410
	v_readlane_b32 s72, v3, 29                                 // 00000000A4BC: D2890048 00013B03
	s_cmp_lt_u32 s72, s62                                      // 00000000A4C4: BF0A3E48
	s_cselect_b32 s21, s16, s52                                // 00000000A4C8: 85153410
	s_mov_b64 exec, s[20:21]                                   // 00000000A4CC: BEFE0114
	global_atomic_add_f32 v6, v184, s[8:9]                     // 00000000A4D0: DD348000 0008B806
	global_atomic_add_f32 v6, v188, s[8:9] offset:256          // 00000000A4D8: DD348100 0008BC06
	s_mov_b64 exec, s[16:17]                                   // 00000000A4E0: BEFE0110
	v_mov_b32_e32 v6, v111                                     // 00000000A4E4: 7E0C036F
	s_mov_b64 s[52:53], 0                                      // 00000000A4E8: BEB40180
	v_readlane_b32 s72, v3, 30                                 // 00000000A4EC: D2890048 00013D03
	s_cmp_lt_u32 s72, s62                                      // 00000000A4F4: BF0A3E48
	s_cselect_b32 s20, s16, s52                                // 00000000A4F8: 85143410
	v_readlane_b32 s72, v3, 31                                 // 00000000A4FC: D2890048 00013F03
	s_cmp_lt_u32 s72, s62                                      // 00000000A504: BF0A3E48
	s_cselect_b32 s21, s16, s52                                // 00000000A508: 85153410
	s_mov_b64 exec, s[20:21]                                   // 00000000A50C: BEFE0114
	global_atomic_add_f32 v6, v185, s[8:9]                     // 00000000A510: DD348000 0008B906
	global_atomic_add_f32 v6, v189, s[8:9] offset:256          // 00000000A518: DD348100 0008BD06
	s_mov_b64 exec, s[16:17]                                   // 00000000A520: BEFE0110
	ds_write_b64 v16, v[130:131]                               // 00000000A524: D89A0000 00008210
	ds_write_b64 v16, v[134:135] offset:4352                   // 00000000A52C: D89A1100 00008610
	ds_write_b64 v16, v[138:139] offset:8704                   // 00000000A534: D89A2200 00008A10
	ds_write_b64 v16, v[142:143] offset:13056                  // 00000000A53C: D89A3300 00008E10
	ds_write_b64 v16, v[146:147] offset:17408                  // 00000000A544: D89A4400 00009210
	ds_write_b64 v16, v[150:151] offset:21760                  // 00000000A54C: D89A5500 00009610
	ds_write_b64 v16, v[154:155] offset:26112                  // 00000000A554: D89A6600 00009A10
	ds_write_b64 v16, v[158:159] offset:30464                  // 00000000A55C: D89A7700 00009E10
	ds_write_b64 v16, v[162:163] offset:2176                   // 00000000A564: D89A0880 0000A210
	ds_write_b64 v16, v[166:167] offset:6528                   // 00000000A56C: D89A1980 0000A610
	ds_write_b64 v16, v[170:171] offset:10880                  // 00000000A574: D89A2A80 0000AA10
	ds_write_b64 v16, v[174:175] offset:15232                  // 00000000A57C: D89A3B80 0000AE10
	ds_write_b64 v16, v[178:179] offset:19584                  // 00000000A584: D89A4C80 0000B210
	ds_write_b64 v16, v[182:183] offset:23936                  // 00000000A58C: D89A5D80 0000B610
	ds_write_b64 v16, v[186:187] offset:28288                  // 00000000A594: D89A6E80 0000BA10
	ds_write_b64 v16, v[190:191] offset:32640                  // 00000000A59C: D89A7F80 0000BE10
	s_waitcnt lgkmcnt(0)                                       // 00000000A5A4: BF8CC07F
	s_barrier                                                  // 00000000A5A8: BF8A0000
	ds_read_b32 v130, v17                                      // 00000000A5AC: D86C0000 82000011
	ds_read_b32 v131, v17 offset:64                            // 00000000A5B4: D86C0040 83000011
	ds_read_b32 v134, v17 offset:2176                          // 00000000A5BC: D86C0880 86000011
	ds_read_b32 v135, v17 offset:2240                          // 00000000A5C4: D86C08C0 87000011
	ds_read_b32 v138, v17 offset:4352                          // 00000000A5CC: D86C1100 8A000011
	ds_read_b32 v139, v17 offset:4416                          // 00000000A5D4: D86C1140 8B000011
	ds_read_b32 v142, v17 offset:6528                          // 00000000A5DC: D86C1980 8E000011
	ds_read_b32 v143, v17 offset:6592                          // 00000000A5E4: D86C19C0 8F000011
	ds_read_b32 v146, v17 offset:8704                          // 00000000A5EC: D86C2200 92000011
	ds_read_b32 v147, v17 offset:8768                          // 00000000A5F4: D86C2240 93000011
	ds_read_b32 v150, v17 offset:10880                         // 00000000A5FC: D86C2A80 96000011
	ds_read_b32 v151, v17 offset:10944                         // 00000000A604: D86C2AC0 97000011
	ds_read_b32 v154, v17 offset:13056                         // 00000000A60C: D86C3300 9A000011
	ds_read_b32 v155, v17 offset:13120                         // 00000000A614: D86C3340 9B000011
	ds_read_b32 v158, v17 offset:15232                         // 00000000A61C: D86C3B80 9E000011
	ds_read_b32 v159, v17 offset:15296                         // 00000000A624: D86C3BC0 9F000011
	ds_read_b32 v162, v17 offset:17408                         // 00000000A62C: D86C4400 A2000011
	ds_read_b32 v163, v17 offset:17472                         // 00000000A634: D86C4440 A3000011
	ds_read_b32 v166, v17 offset:19584                         // 00000000A63C: D86C4C80 A6000011
	ds_read_b32 v167, v17 offset:19648                         // 00000000A644: D86C4CC0 A7000011
	ds_read_b32 v170, v17 offset:21760                         // 00000000A64C: D86C5500 AA000011
	ds_read_b32 v171, v17 offset:21824                         // 00000000A654: D86C5540 AB000011
	ds_read_b32 v174, v17 offset:23936                         // 00000000A65C: D86C5D80 AE000011
	ds_read_b32 v175, v17 offset:24000                         // 00000000A664: D86C5DC0 AF000011
	ds_read_b32 v178, v17 offset:26112                         // 00000000A66C: D86C6600 B2000011
	ds_read_b32 v179, v17 offset:26176                         // 00000000A674: D86C6640 B3000011
	ds_read_b32 v182, v17 offset:28288                         // 00000000A67C: D86C6E80 B6000011
	ds_read_b32 v183, v17 offset:28352                         // 00000000A684: D86C6EC0 B7000011
	ds_read_b32 v186, v17 offset:30464                         // 00000000A68C: D86C7700 BA000011
	ds_read_b32 v187, v17 offset:30528                         // 00000000A694: D86C7740 BB000011
	ds_read_b32 v190, v17 offset:32640                         // 00000000A69C: D86C7F80 BE000011
	ds_read_b32 v191, v17 offset:32704                         // 00000000A6A4: D86C7FC0 BF000011
	s_waitcnt lgkmcnt(0)                                       // 00000000A6AC: BF8CC07F
	v_mov_b32_e32 v7, 0                                        // 00000000A6B0: 7E0E0280
	s_mov_b64 exec, s[16:17]                                   // 00000000A6B4: BEFE0110
	v_mov_b32_e32 v6, v96                                      // 00000000A6B8: 7E0C0360
	s_mov_b64 s[52:53], 0                                      // 00000000A6BC: BEB40180
	v_readlane_b32 s72, v3, 0                                  // 00000000A6C0: D2890048 00010103
	s_cmp_lt_u32 s72, s62                                      // 00000000A6C8: BF0A3E48
	s_cselect_b32 s20, s16, s52                                // 00000000A6CC: 85143410
	v_readlane_b32 s72, v3, 1                                  // 00000000A6D0: D2890048 00010303
	s_cmp_lt_u32 s72, s62                                      // 00000000A6D8: BF0A3E48
	s_cselect_b32 s21, s16, s52                                // 00000000A6DC: 85153410
	s_mov_b64 exec, s[20:21]                                   // 00000000A6E0: BEFE0114
	global_atomic_add_f32 v6, v130, s[8:9] offset:8            // 00000000A6E4: DD348008 00088206
	global_atomic_add_f32 v6, v134, s[8:9] offset:264          // 00000000A6EC: DD348108 00088606
	s_mov_b64 exec, s[16:17]                                   // 00000000A6F4: BEFE0110
	v_mov_b32_e32 v6, v97                                      // 00000000A6F8: 7E0C0361
	s_mov_b64 s[52:53], 0                                      // 00000000A6FC: BEB40180
	v_readlane_b32 s72, v3, 2                                  // 00000000A700: D2890048 00010503
	s_cmp_lt_u32 s72, s62                                      // 00000000A708: BF0A3E48
	s_cselect_b32 s20, s16, s52                                // 00000000A70C: 85143410
	v_readlane_b32 s72, v3, 3                                  // 00000000A710: D2890048 00010703
	s_cmp_lt_u32 s72, s62                                      // 00000000A718: BF0A3E48
	s_cselect_b32 s21, s16, s52                                // 00000000A71C: 85153410
	s_mov_b64 exec, s[20:21]                                   // 00000000A720: BEFE0114
	global_atomic_add_f32 v6, v131, s[8:9] offset:8            // 00000000A724: DD348008 00088306
	global_atomic_add_f32 v6, v135, s[8:9] offset:264          // 00000000A72C: DD348108 00088706
	s_mov_b64 exec, s[16:17]                                   // 00000000A734: BEFE0110
	v_mov_b32_e32 v6, v98                                      // 00000000A738: 7E0C0362
	s_mov_b64 s[52:53], 0                                      // 00000000A73C: BEB40180
	v_readlane_b32 s72, v3, 4                                  // 00000000A740: D2890048 00010903
	s_cmp_lt_u32 s72, s62                                      // 00000000A748: BF0A3E48
	s_cselect_b32 s20, s16, s52                                // 00000000A74C: 85143410
	v_readlane_b32 s72, v3, 5                                  // 00000000A750: D2890048 00010B03
	s_cmp_lt_u32 s72, s62                                      // 00000000A758: BF0A3E48
	s_cselect_b32 s21, s16, s52                                // 00000000A75C: 85153410
	s_mov_b64 exec, s[20:21]                                   // 00000000A760: BEFE0114
	global_atomic_add_f32 v6, v138, s[8:9] offset:8            // 00000000A764: DD348008 00088A06
	global_atomic_add_f32 v6, v142, s[8:9] offset:264          // 00000000A76C: DD348108 00088E06
	s_mov_b64 exec, s[16:17]                                   // 00000000A774: BEFE0110
	v_mov_b32_e32 v6, v99                                      // 00000000A778: 7E0C0363
	s_mov_b64 s[52:53], 0                                      // 00000000A77C: BEB40180
	v_readlane_b32 s72, v3, 6                                  // 00000000A780: D2890048 00010D03
	s_cmp_lt_u32 s72, s62                                      // 00000000A788: BF0A3E48
	s_cselect_b32 s20, s16, s52                                // 00000000A78C: 85143410
	v_readlane_b32 s72, v3, 7                                  // 00000000A790: D2890048 00010F03
	s_cmp_lt_u32 s72, s62                                      // 00000000A798: BF0A3E48
	s_cselect_b32 s21, s16, s52                                // 00000000A79C: 85153410
	s_mov_b64 exec, s[20:21]                                   // 00000000A7A0: BEFE0114
	global_atomic_add_f32 v6, v139, s[8:9] offset:8            // 00000000A7A4: DD348008 00088B06
	global_atomic_add_f32 v6, v143, s[8:9] offset:264          // 00000000A7AC: DD348108 00088F06
	s_mov_b64 exec, s[16:17]                                   // 00000000A7B4: BEFE0110
	v_mov_b32_e32 v6, v100                                     // 00000000A7B8: 7E0C0364
	s_mov_b64 s[52:53], 0                                      // 00000000A7BC: BEB40180
	v_readlane_b32 s72, v3, 8                                  // 00000000A7C0: D2890048 00011103
	s_cmp_lt_u32 s72, s62                                      // 00000000A7C8: BF0A3E48
	s_cselect_b32 s20, s16, s52                                // 00000000A7CC: 85143410
	v_readlane_b32 s72, v3, 9                                  // 00000000A7D0: D2890048 00011303
	s_cmp_lt_u32 s72, s62                                      // 00000000A7D8: BF0A3E48
	s_cselect_b32 s21, s16, s52                                // 00000000A7DC: 85153410
	s_mov_b64 exec, s[20:21]                                   // 00000000A7E0: BEFE0114
	global_atomic_add_f32 v6, v146, s[8:9] offset:8            // 00000000A7E4: DD348008 00089206
	global_atomic_add_f32 v6, v150, s[8:9] offset:264          // 00000000A7EC: DD348108 00089606
	s_mov_b64 exec, s[16:17]                                   // 00000000A7F4: BEFE0110
	v_mov_b32_e32 v6, v101                                     // 00000000A7F8: 7E0C0365
	s_mov_b64 s[52:53], 0                                      // 00000000A7FC: BEB40180
	v_readlane_b32 s72, v3, 10                                 // 00000000A800: D2890048 00011503
	s_cmp_lt_u32 s72, s62                                      // 00000000A808: BF0A3E48
	s_cselect_b32 s20, s16, s52                                // 00000000A80C: 85143410
	v_readlane_b32 s72, v3, 11                                 // 00000000A810: D2890048 00011703
	s_cmp_lt_u32 s72, s62                                      // 00000000A818: BF0A3E48
	s_cselect_b32 s21, s16, s52                                // 00000000A81C: 85153410
	s_mov_b64 exec, s[20:21]                                   // 00000000A820: BEFE0114
	global_atomic_add_f32 v6, v147, s[8:9] offset:8            // 00000000A824: DD348008 00089306
	global_atomic_add_f32 v6, v151, s[8:9] offset:264          // 00000000A82C: DD348108 00089706
	s_mov_b64 exec, s[16:17]                                   // 00000000A834: BEFE0110
	v_mov_b32_e32 v6, v102                                     // 00000000A838: 7E0C0366
	s_mov_b64 s[52:53], 0                                      // 00000000A83C: BEB40180
	v_readlane_b32 s72, v3, 12                                 // 00000000A840: D2890048 00011903
	s_cmp_lt_u32 s72, s62                                      // 00000000A848: BF0A3E48
	s_cselect_b32 s20, s16, s52                                // 00000000A84C: 85143410
	v_readlane_b32 s72, v3, 13                                 // 00000000A850: D2890048 00011B03
	s_cmp_lt_u32 s72, s62                                      // 00000000A858: BF0A3E48
	s_cselect_b32 s21, s16, s52                                // 00000000A85C: 85153410
	s_mov_b64 exec, s[20:21]                                   // 00000000A860: BEFE0114
	global_atomic_add_f32 v6, v154, s[8:9] offset:8            // 00000000A864: DD348008 00089A06
	global_atomic_add_f32 v6, v158, s[8:9] offset:264          // 00000000A86C: DD348108 00089E06
	s_mov_b64 exec, s[16:17]                                   // 00000000A874: BEFE0110
	v_mov_b32_e32 v6, v103                                     // 00000000A878: 7E0C0367
	s_mov_b64 s[52:53], 0                                      // 00000000A87C: BEB40180
	v_readlane_b32 s72, v3, 14                                 // 00000000A880: D2890048 00011D03
	s_cmp_lt_u32 s72, s62                                      // 00000000A888: BF0A3E48
	s_cselect_b32 s20, s16, s52                                // 00000000A88C: 85143410
	v_readlane_b32 s72, v3, 15                                 // 00000000A890: D2890048 00011F03
	s_cmp_lt_u32 s72, s62                                      // 00000000A898: BF0A3E48
	s_cselect_b32 s21, s16, s52                                // 00000000A89C: 85153410
	s_mov_b64 exec, s[20:21]                                   // 00000000A8A0: BEFE0114
	global_atomic_add_f32 v6, v155, s[8:9] offset:8            // 00000000A8A4: DD348008 00089B06
	global_atomic_add_f32 v6, v159, s[8:9] offset:264          // 00000000A8AC: DD348108 00089F06
	s_mov_b64 exec, s[16:17]                                   // 00000000A8B4: BEFE0110
	v_mov_b32_e32 v6, v104                                     // 00000000A8B8: 7E0C0368
	s_mov_b64 s[52:53], 0                                      // 00000000A8BC: BEB40180
	v_readlane_b32 s72, v3, 16                                 // 00000000A8C0: D2890048 00012103
	s_cmp_lt_u32 s72, s62                                      // 00000000A8C8: BF0A3E48
	s_cselect_b32 s20, s16, s52                                // 00000000A8CC: 85143410
	v_readlane_b32 s72, v3, 17                                 // 00000000A8D0: D2890048 00012303
	s_cmp_lt_u32 s72, s62                                      // 00000000A8D8: BF0A3E48
	s_cselect_b32 s21, s16, s52                                // 00000000A8DC: 85153410
	s_mov_b64 exec, s[20:21]                                   // 00000000A8E0: BEFE0114
	global_atomic_add_f32 v6, v162, s[8:9] offset:8            // 00000000A8E4: DD348008 0008A206
	global_atomic_add_f32 v6, v166, s[8:9] offset:264          // 00000000A8EC: DD348108 0008A606
	s_mov_b64 exec, s[16:17]                                   // 00000000A8F4: BEFE0110
	v_mov_b32_e32 v6, v105                                     // 00000000A8F8: 7E0C0369
	s_mov_b64 s[52:53], 0                                      // 00000000A8FC: BEB40180
	v_readlane_b32 s72, v3, 18                                 // 00000000A900: D2890048 00012503
	s_cmp_lt_u32 s72, s62                                      // 00000000A908: BF0A3E48
	s_cselect_b32 s20, s16, s52                                // 00000000A90C: 85143410
	v_readlane_b32 s72, v3, 19                                 // 00000000A910: D2890048 00012703
	s_cmp_lt_u32 s72, s62                                      // 00000000A918: BF0A3E48
	s_cselect_b32 s21, s16, s52                                // 00000000A91C: 85153410
	s_mov_b64 exec, s[20:21]                                   // 00000000A920: BEFE0114
	global_atomic_add_f32 v6, v163, s[8:9] offset:8            // 00000000A924: DD348008 0008A306
	global_atomic_add_f32 v6, v167, s[8:9] offset:264          // 00000000A92C: DD348108 0008A706
	s_mov_b64 exec, s[16:17]                                   // 00000000A934: BEFE0110
	v_mov_b32_e32 v6, v106                                     // 00000000A938: 7E0C036A
	s_mov_b64 s[52:53], 0                                      // 00000000A93C: BEB40180
	v_readlane_b32 s72, v3, 20                                 // 00000000A940: D2890048 00012903
	s_cmp_lt_u32 s72, s62                                      // 00000000A948: BF0A3E48
	s_cselect_b32 s20, s16, s52                                // 00000000A94C: 85143410
	v_readlane_b32 s72, v3, 21                                 // 00000000A950: D2890048 00012B03
	s_cmp_lt_u32 s72, s62                                      // 00000000A958: BF0A3E48
	s_cselect_b32 s21, s16, s52                                // 00000000A95C: 85153410
	s_mov_b64 exec, s[20:21]                                   // 00000000A960: BEFE0114
	global_atomic_add_f32 v6, v170, s[8:9] offset:8            // 00000000A964: DD348008 0008AA06
	global_atomic_add_f32 v6, v174, s[8:9] offset:264          // 00000000A96C: DD348108 0008AE06
	s_mov_b64 exec, s[16:17]                                   // 00000000A974: BEFE0110
	v_mov_b32_e32 v6, v107                                     // 00000000A978: 7E0C036B
	s_mov_b64 s[52:53], 0                                      // 00000000A97C: BEB40180
	v_readlane_b32 s72, v3, 22                                 // 00000000A980: D2890048 00012D03
	s_cmp_lt_u32 s72, s62                                      // 00000000A988: BF0A3E48
	s_cselect_b32 s20, s16, s52                                // 00000000A98C: 85143410
	v_readlane_b32 s72, v3, 23                                 // 00000000A990: D2890048 00012F03
	s_cmp_lt_u32 s72, s62                                      // 00000000A998: BF0A3E48
	s_cselect_b32 s21, s16, s52                                // 00000000A99C: 85153410
	s_mov_b64 exec, s[20:21]                                   // 00000000A9A0: BEFE0114
	global_atomic_add_f32 v6, v171, s[8:9] offset:8            // 00000000A9A4: DD348008 0008AB06
	global_atomic_add_f32 v6, v175, s[8:9] offset:264          // 00000000A9AC: DD348108 0008AF06
	s_mov_b64 exec, s[16:17]                                   // 00000000A9B4: BEFE0110
	v_mov_b32_e32 v6, v108                                     // 00000000A9B8: 7E0C036C
	s_mov_b64 s[52:53], 0                                      // 00000000A9BC: BEB40180
	v_readlane_b32 s72, v3, 24                                 // 00000000A9C0: D2890048 00013103
	s_cmp_lt_u32 s72, s62                                      // 00000000A9C8: BF0A3E48
	s_cselect_b32 s20, s16, s52                                // 00000000A9CC: 85143410
	v_readlane_b32 s72, v3, 25                                 // 00000000A9D0: D2890048 00013303
	s_cmp_lt_u32 s72, s62                                      // 00000000A9D8: BF0A3E48
	s_cselect_b32 s21, s16, s52                                // 00000000A9DC: 85153410
	s_mov_b64 exec, s[20:21]                                   // 00000000A9E0: BEFE0114
	global_atomic_add_f32 v6, v178, s[8:9] offset:8            // 00000000A9E4: DD348008 0008B206
	global_atomic_add_f32 v6, v182, s[8:9] offset:264          // 00000000A9EC: DD348108 0008B606
	s_mov_b64 exec, s[16:17]                                   // 00000000A9F4: BEFE0110
	v_mov_b32_e32 v6, v109                                     // 00000000A9F8: 7E0C036D
	s_mov_b64 s[52:53], 0                                      // 00000000A9FC: BEB40180
	v_readlane_b32 s72, v3, 26                                 // 00000000AA00: D2890048 00013503
	s_cmp_lt_u32 s72, s62                                      // 00000000AA08: BF0A3E48
	s_cselect_b32 s20, s16, s52                                // 00000000AA0C: 85143410
	v_readlane_b32 s72, v3, 27                                 // 00000000AA10: D2890048 00013703
	s_cmp_lt_u32 s72, s62                                      // 00000000AA18: BF0A3E48
	s_cselect_b32 s21, s16, s52                                // 00000000AA1C: 85153410
	s_mov_b64 exec, s[20:21]                                   // 00000000AA20: BEFE0114
	global_atomic_add_f32 v6, v179, s[8:9] offset:8            // 00000000AA24: DD348008 0008B306
	global_atomic_add_f32 v6, v183, s[8:9] offset:264          // 00000000AA2C: DD348108 0008B706
	s_mov_b64 exec, s[16:17]                                   // 00000000AA34: BEFE0110
	v_mov_b32_e32 v6, v110                                     // 00000000AA38: 7E0C036E
	s_mov_b64 s[52:53], 0                                      // 00000000AA3C: BEB40180
	v_readlane_b32 s72, v3, 28                                 // 00000000AA40: D2890048 00013903
	s_cmp_lt_u32 s72, s62                                      // 00000000AA48: BF0A3E48
	s_cselect_b32 s20, s16, s52                                // 00000000AA4C: 85143410
	v_readlane_b32 s72, v3, 29                                 // 00000000AA50: D2890048 00013B03
	s_cmp_lt_u32 s72, s62                                      // 00000000AA58: BF0A3E48
	s_cselect_b32 s21, s16, s52                                // 00000000AA5C: 85153410
	s_mov_b64 exec, s[20:21]                                   // 00000000AA60: BEFE0114
	global_atomic_add_f32 v6, v186, s[8:9] offset:8            // 00000000AA64: DD348008 0008BA06
	global_atomic_add_f32 v6, v190, s[8:9] offset:264          // 00000000AA6C: DD348108 0008BE06
	s_mov_b64 exec, s[16:17]                                   // 00000000AA74: BEFE0110
	v_mov_b32_e32 v6, v111                                     // 00000000AA78: 7E0C036F
	s_mov_b64 s[52:53], 0                                      // 00000000AA7C: BEB40180
	v_readlane_b32 s72, v3, 30                                 // 00000000AA80: D2890048 00013D03
	s_cmp_lt_u32 s72, s62                                      // 00000000AA88: BF0A3E48
	s_cselect_b32 s20, s16, s52                                // 00000000AA8C: 85143410
	v_readlane_b32 s72, v3, 31                                 // 00000000AA90: D2890048 00013F03
	s_cmp_lt_u32 s72, s62                                      // 00000000AA98: BF0A3E48
	s_cselect_b32 s21, s16, s52                                // 00000000AA9C: 85153410
	s_mov_b64 exec, s[20:21]                                   // 00000000AAA0: BEFE0114
	global_atomic_add_f32 v6, v187, s[8:9] offset:8            // 00000000AAA4: DD348008 0008BB06
	global_atomic_add_f32 v6, v191, s[8:9] offset:264          // 00000000AAAC: DD348108 0008BF06
	s_mov_b64 exec, s[16:17]                                   // 00000000AAB4: BEFE0110
	s_branch label_2072                                        // 00000000AAB8: BF820000

000000000000aabc <label_2072>:
	s_waitcnt vmcnt(0) expcnt(0) lgkmcnt(0)                    // 00000000AABC: BF8C0000
	s_endpgm                                                   // 00000000AAC0: BF810000
